;; amdgpu-corpus repo=ROCm/rocFFT kind=compiled arch=gfx906 opt=O3
	.text
	.amdgcn_target "amdgcn-amd-amdhsa--gfx906"
	.amdhsa_code_object_version 6
	.protected	bluestein_single_back_len1680_dim1_half_op_CI_CI ; -- Begin function bluestein_single_back_len1680_dim1_half_op_CI_CI
	.globl	bluestein_single_back_len1680_dim1_half_op_CI_CI
	.p2align	8
	.type	bluestein_single_back_len1680_dim1_half_op_CI_CI,@function
bluestein_single_back_len1680_dim1_half_op_CI_CI: ; @bluestein_single_back_len1680_dim1_half_op_CI_CI
; %bb.0:
	s_load_dwordx4 s[12:15], s[4:5], 0x28
	v_mul_u32_u24_e32 v1, 0x24a, v0
	v_add_u32_sdwa v26, s6, v1 dst_sel:DWORD dst_unused:UNUSED_PAD src0_sel:DWORD src1_sel:WORD_1
	v_mov_b32_e32 v27, 0
	s_waitcnt lgkmcnt(0)
	v_cmp_gt_u64_e32 vcc, s[12:13], v[26:27]
	s_and_saveexec_b64 s[0:1], vcc
	s_cbranch_execz .LBB0_47
; %bb.1:
	s_load_dwordx4 s[8:11], s[4:5], 0x18
	s_load_dwordx2 s[16:17], s[4:5], 0x0
	s_movk_i32 s6, 0x70
	v_mul_lo_u16_sdwa v1, v1, s6 dst_sel:DWORD dst_unused:UNUSED_PAD src0_sel:WORD_1 src1_sel:DWORD
	v_sub_u16_e32 v66, v0, v1
	s_waitcnt lgkmcnt(0)
	s_load_dwordx4 s[0:3], s[8:9], 0x0
	v_lshlrev_b32_e32 v53, 2, v66
	global_load_dword v68, v53, s[16:17]
	s_movk_i32 s18, 0x1000
	s_load_dwordx2 s[12:13], s[4:5], 0x38
	s_waitcnt lgkmcnt(0)
	v_mad_u64_u32 v[0:1], s[6:7], s2, v26, 0
	v_mad_u64_u32 v[2:3], s[6:7], s0, v66, 0
	s_mul_hi_u32 s6, s0, 0x348
	v_mad_u64_u32 v[4:5], s[2:3], s3, v26, v[1:2]
	v_mad_u64_u32 v[5:6], s[2:3], s1, v66, v[3:4]
	v_mov_b32_e32 v1, v4
	v_lshlrev_b64 v[0:1], 2, v[0:1]
	v_mov_b32_e32 v6, s15
	v_mov_b32_e32 v3, v5
	v_add_co_u32_e32 v4, vcc, s14, v0
	v_addc_co_u32_e32 v5, vcc, v6, v1, vcc
	v_lshlrev_b64 v[0:1], 2, v[2:3]
	s_mul_i32 s3, s1, 0x348
	v_add_co_u32_e32 v0, vcc, v4, v0
	v_addc_co_u32_e32 v1, vcc, v5, v1, vcc
	global_load_dword v4, v[0:1], off
	s_mul_i32 s2, s0, 0x348
	s_add_i32 s3, s6, s3
	s_lshl_b64 s[2:3], s[2:3], 2
	v_mov_b32_e32 v5, s3
	v_add_co_u32_e32 v0, vcc, s2, v0
	v_addc_co_u32_e32 v1, vcc, v1, v5, vcc
	global_load_dword v6, v[0:1], off
	global_load_dword v67, v53, s[16:17] offset:3360
	s_mul_hi_u32 s15, s0, 0xfffffd28
	s_mulk_i32 s1, 0xfd28
	s_mul_i32 s14, s0, 0xfffffd28
	s_sub_i32 s0, s15, s0
	v_mov_b32_e32 v2, s17
	v_add_co_u32_e64 v24, s[6:7], s16, v53
	s_add_i32 s15, s0, s1
	v_addc_co_u32_e64 v25, vcc, 0, v2, s[6:7]
	s_lshl_b64 s[14:15], s[14:15], 2
	v_mov_b32_e32 v7, s15
	v_add_co_u32_e32 v0, vcc, s14, v0
	v_addc_co_u32_e32 v1, vcc, v1, v7, vcc
	s_load_dwordx4 s[8:11], s[10:11], 0x0
	global_load_dword v64, v53, s[16:17] offset:3808
	global_load_dword v65, v53, s[16:17] offset:448
	;; [unrolled: 1-line block ×3, first 2 shown]
	global_load_dword v8, v[0:1], off
	v_add_co_u32_e32 v2, vcc, s18, v24
	v_addc_co_u32_e32 v3, vcc, 0, v25, vcc
	v_add_co_u32_e32 v0, vcc, s2, v0
	v_addc_co_u32_e32 v1, vcc, v1, v5, vcc
	global_load_dword v9, v[0:1], off
	global_load_dword v62, v[2:3], off offset:160
	v_add_co_u32_e32 v0, vcc, s14, v0
	v_addc_co_u32_e32 v1, vcc, v1, v7, vcc
	global_load_dword v10, v[0:1], off
	v_add_co_u32_e32 v0, vcc, s2, v0
	v_addc_co_u32_e32 v1, vcc, v1, v5, vcc
	global_load_dword v11, v[0:1], off
	global_load_dword v61, v53, s[16:17] offset:1344
	global_load_dword v59, v53, s[16:17] offset:1792
	;; [unrolled: 1-line block ×4, first 2 shown]
	v_add_co_u32_e32 v0, vcc, s14, v0
	v_addc_co_u32_e32 v1, vcc, v1, v7, vcc
	global_load_dword v12, v[0:1], off
	global_load_dword v60, v[2:3], off offset:608
	v_add_co_u32_e32 v0, vcc, s2, v0
	v_addc_co_u32_e32 v1, vcc, v1, v5, vcc
	global_load_dword v13, v[0:1], off
	v_add_co_u32_e32 v0, vcc, s14, v0
	v_addc_co_u32_e32 v1, vcc, v1, v7, vcc
	global_load_dword v16, v[0:1], off
	;; [unrolled: 3-line block ×3, first 2 shown]
	global_load_dword v58, v[2:3], off offset:1056
	v_add_co_u32_e32 v0, vcc, s14, v0
	v_addc_co_u32_e32 v1, vcc, v1, v7, vcc
	v_cmp_gt_u16_e64 s[0:1], 56, v66
	s_waitcnt vmcnt(20)
	v_lshrrev_b32_e32 v14, 16, v4
	v_mul_f16_sdwa v15, v68, v14 dst_sel:DWORD dst_unused:UNUSED_PAD src0_sel:WORD_1 src1_sel:DWORD
	v_fma_f16 v15, v68, v4, v15
	v_mul_f16_sdwa v4, v68, v4 dst_sel:DWORD dst_unused:UNUSED_PAD src0_sel:WORD_1 src1_sel:DWORD
	v_fma_f16 v4, v68, v14, -v4
	global_load_dword v14, v[0:1], off
	v_add_co_u32_e32 v0, vcc, s2, v0
	v_addc_co_u32_e32 v1, vcc, v1, v5, vcc
	global_load_dword v19, v[0:1], off
	global_load_dword v56, v[2:3], off offset:1504
	v_add_co_u32_e32 v0, vcc, s14, v0
	v_addc_co_u32_e32 v1, vcc, v1, v7, vcc
	global_load_dword v7, v[0:1], off
	v_pack_b32_f16 v4, v15, v4
	s_waitcnt vmcnt(23)
	v_lshrrev_b32_e32 v15, 16, v6
	s_waitcnt vmcnt(22)
	v_mul_f16_sdwa v18, v67, v15 dst_sel:DWORD dst_unused:UNUSED_PAD src0_sel:WORD_1 src1_sel:DWORD
	v_add_co_u32_e32 v0, vcc, s2, v0
	v_fma_f16 v18, v67, v6, v18
	v_mul_f16_sdwa v6, v67, v6 dst_sel:DWORD dst_unused:UNUSED_PAD src0_sel:WORD_1 src1_sel:DWORD
	v_addc_co_u32_e32 v1, vcc, v1, v5, vcc
	v_fma_f16 v6, v67, v15, -v6
	global_load_dword v15, v[0:1], off
	global_load_dword v54, v[2:3], off offset:1952
	v_pack_b32_f16 v2, v18, v6
	ds_write_b32 v53, v2 offset:3360
	s_waitcnt vmcnt(20)
	v_lshrrev_b32_e32 v2, 16, v8
	v_mul_f16_sdwa v3, v65, v2 dst_sel:DWORD dst_unused:UNUSED_PAD src0_sel:WORD_1 src1_sel:DWORD
	v_mul_f16_sdwa v5, v65, v8 dst_sel:DWORD dst_unused:UNUSED_PAD src0_sel:WORD_1 src1_sel:DWORD
	v_fma_f16 v3, v65, v8, v3
	v_fma_f16 v2, v65, v2, -v5
	v_pack_b32_f16 v2, v3, v2
	ds_write2_b32 v53, v4, v2 offset1:112
	s_waitcnt vmcnt(19)
	v_lshrrev_b32_e32 v2, 16, v9
	v_mul_f16_sdwa v3, v64, v2 dst_sel:DWORD dst_unused:UNUSED_PAD src0_sel:WORD_1 src1_sel:DWORD
	v_mul_f16_sdwa v4, v64, v9 dst_sel:DWORD dst_unused:UNUSED_PAD src0_sel:WORD_1 src1_sel:DWORD
	v_fma_f16 v3, v64, v9, v3
	v_fma_f16 v2, v64, v2, -v4
	v_pack_b32_f16 v2, v3, v2
	s_waitcnt vmcnt(17)
	v_lshrrev_b32_e32 v3, 16, v10
	v_mul_f16_sdwa v4, v63, v3 dst_sel:DWORD dst_unused:UNUSED_PAD src0_sel:WORD_1 src1_sel:DWORD
	v_mul_f16_sdwa v5, v63, v10 dst_sel:DWORD dst_unused:UNUSED_PAD src0_sel:WORD_1 src1_sel:DWORD
	v_fma_f16 v4, v63, v10, v4
	v_fma_f16 v3, v63, v3, -v5
	v_pack_b32_f16 v3, v4, v3
	;; [unrolled: 7-line block ×3, first 2 shown]
	v_add_u32_e32 v4, 0xe00, v53
	ds_write2_b32 v4, v2, v5 offset0:56 offset1:168
	s_waitcnt vmcnt(11)
	v_lshrrev_b32_e32 v2, 16, v12
	v_mul_f16_sdwa v5, v61, v2 dst_sel:DWORD dst_unused:UNUSED_PAD src0_sel:WORD_1 src1_sel:DWORD
	v_mul_f16_sdwa v6, v61, v12 dst_sel:DWORD dst_unused:UNUSED_PAD src0_sel:WORD_1 src1_sel:DWORD
	v_fma_f16 v5, v61, v12, v5
	v_fma_f16 v2, v61, v2, -v6
	v_pack_b32_f16 v2, v5, v2
	v_add_u32_e32 v5, 0x200, v53
	ds_write2_b32 v5, v3, v2 offset0:96 offset1:208
	s_waitcnt vmcnt(9)
	v_lshrrev_b32_e32 v2, 16, v13
	v_mul_f16_sdwa v3, v60, v2 dst_sel:DWORD dst_unused:UNUSED_PAD src0_sel:WORD_1 src1_sel:DWORD
	v_mul_f16_sdwa v6, v60, v13 dst_sel:DWORD dst_unused:UNUSED_PAD src0_sel:WORD_1 src1_sel:DWORD
	v_fma_f16 v3, v60, v13, v3
	v_fma_f16 v2, v60, v2, -v6
	v_pack_b32_f16 v2, v3, v2
	s_waitcnt vmcnt(8)
	v_lshrrev_b32_e32 v3, 16, v16
	v_mul_f16_sdwa v6, v59, v3 dst_sel:DWORD dst_unused:UNUSED_PAD src0_sel:WORD_1 src1_sel:DWORD
	v_mul_f16_sdwa v8, v59, v16 dst_sel:DWORD dst_unused:UNUSED_PAD src0_sel:WORD_1 src1_sel:DWORD
	v_fma_f16 v6, v59, v16, v6
	v_fma_f16 v3, v59, v3, -v8
	v_pack_b32_f16 v3, v6, v3
	s_waitcnt vmcnt(7)
	v_lshrrev_b32_e32 v6, 16, v17
	s_waitcnt vmcnt(6)
	v_mul_f16_sdwa v8, v58, v6 dst_sel:DWORD dst_unused:UNUSED_PAD src0_sel:WORD_1 src1_sel:DWORD
	v_mul_f16_sdwa v9, v58, v17 dst_sel:DWORD dst_unused:UNUSED_PAD src0_sel:WORD_1 src1_sel:DWORD
	v_fma_f16 v8, v58, v17, v8
	v_fma_f16 v6, v58, v6, -v9
	v_pack_b32_f16 v6, v8, v6
	v_add_u32_e32 v10, 0x1200, v53
	ds_write2_b32 v10, v2, v6 offset0:24 offset1:136
	v_add_u32_e32 v12, 0x600, v53
	s_waitcnt vmcnt(5)
	v_lshrrev_b32_e32 v2, 16, v14
	v_mul_f16_sdwa v6, v57, v2 dst_sel:DWORD dst_unused:UNUSED_PAD src0_sel:WORD_1 src1_sel:DWORD
	v_mul_f16_sdwa v8, v57, v14 dst_sel:DWORD dst_unused:UNUSED_PAD src0_sel:WORD_1 src1_sel:DWORD
	v_fma_f16 v6, v57, v14, v6
	v_fma_f16 v2, v57, v2, -v8
	v_pack_b32_f16 v2, v6, v2
	ds_write2_b32 v12, v3, v2 offset0:64 offset1:176
	s_waitcnt vmcnt(4)
	v_lshrrev_b32_e32 v2, 16, v19
	s_waitcnt vmcnt(3)
	v_mul_f16_sdwa v3, v56, v2 dst_sel:DWORD dst_unused:UNUSED_PAD src0_sel:WORD_1 src1_sel:DWORD
	v_mul_f16_sdwa v6, v56, v19 dst_sel:DWORD dst_unused:UNUSED_PAD src0_sel:WORD_1 src1_sel:DWORD
	v_fma_f16 v3, v56, v19, v3
	v_fma_f16 v2, v56, v2, -v6
	v_pack_b32_f16 v2, v3, v2
	s_waitcnt vmcnt(2)
	v_lshrrev_b32_e32 v3, 16, v7
	v_mul_f16_sdwa v6, v55, v3 dst_sel:DWORD dst_unused:UNUSED_PAD src0_sel:WORD_1 src1_sel:DWORD
	v_fma_f16 v6, v55, v7, v6
	v_mul_f16_sdwa v7, v55, v7 dst_sel:DWORD dst_unused:UNUSED_PAD src0_sel:WORD_1 src1_sel:DWORD
	v_fma_f16 v3, v55, v3, -v7
	v_pack_b32_f16 v3, v6, v3
	ds_write_b32 v53, v3 offset:2688
	s_waitcnt vmcnt(1)
	v_lshrrev_b32_e32 v3, 16, v15
	s_waitcnt vmcnt(0)
	v_mul_f16_sdwa v6, v54, v3 dst_sel:DWORD dst_unused:UNUSED_PAD src0_sel:WORD_1 src1_sel:DWORD
	v_mul_f16_sdwa v7, v54, v15 dst_sel:DWORD dst_unused:UNUSED_PAD src0_sel:WORD_1 src1_sel:DWORD
	v_fma_f16 v6, v54, v15, v6
	v_fma_f16 v3, v54, v3, -v7
	v_pack_b32_f16 v3, v6, v3
	v_add_u32_e32 v13, 0x1400, v53
	ds_write2_b32 v13, v2, v3 offset0:120 offset1:232
	s_and_saveexec_b64 s[18:19], s[0:1]
	s_cbranch_execz .LBB0_3
; %bb.2:
	v_mov_b32_e32 v2, s15
	v_add_co_u32_e32 v0, vcc, s14, v0
	v_addc_co_u32_e32 v1, vcc, v1, v2, vcc
	global_load_dword v2, v[0:1], off
	global_load_dword v3, v[24:25], off offset:3136
	v_mov_b32_e32 v6, s3
	v_add_co_u32_e32 v0, vcc, s2, v0
	v_addc_co_u32_e32 v1, vcc, v1, v6, vcc
	global_load_dword v6, v[0:1], off
	v_add_co_u32_e32 v0, vcc, 0x1000, v24
	v_addc_co_u32_e32 v1, vcc, 0, v25, vcc
	global_load_dword v0, v[0:1], off offset:2400
	s_waitcnt vmcnt(3)
	v_lshrrev_b32_e32 v1, 16, v2
	s_waitcnt vmcnt(2)
	v_mul_f16_sdwa v7, v3, v2 dst_sel:DWORD dst_unused:UNUSED_PAD src0_sel:WORD_1 src1_sel:DWORD
	v_mul_f16_sdwa v8, v3, v1 dst_sel:DWORD dst_unused:UNUSED_PAD src0_sel:WORD_1 src1_sel:DWORD
	v_fma_f16 v1, v3, v1, -v7
	v_fma_f16 v2, v3, v2, v8
	v_pack_b32_f16 v1, v2, v1
	ds_write_b32 v53, v1 offset:3136
	s_waitcnt vmcnt(1)
	v_lshrrev_b32_e32 v7, 16, v6
	s_waitcnt vmcnt(0)
	v_mul_f16_sdwa v9, v0, v6 dst_sel:DWORD dst_unused:UNUSED_PAD src0_sel:WORD_1 src1_sel:DWORD
	v_mul_f16_sdwa v3, v0, v7 dst_sel:DWORD dst_unused:UNUSED_PAD src0_sel:WORD_1 src1_sel:DWORD
	v_fma_f16 v7, v0, v7, -v9
	v_fma_f16 v0, v0, v6, v3
	v_pack_b32_f16 v0, v0, v7
	ds_write_b32 v53, v0 offset:6496
.LBB0_3:
	s_or_b64 exec, exec, s[18:19]
	v_add_u32_e32 v0, 0xa00, v53
	s_waitcnt lgkmcnt(0)
	s_barrier
	ds_read2_b32 v[8:9], v53 offset1:112
	ds_read2_b32 v[2:3], v0 offset0:32 offset1:200
	ds_read2_b32 v[0:1], v4 offset0:56 offset1:168
	ds_read2_b32 v[6:7], v5 offset0:96 offset1:208
	ds_read2_b32 v[10:11], v10 offset0:24 offset1:136
	ds_read2_b32 v[4:5], v12 offset0:64 offset1:176
	ds_read2_b32 v[12:13], v13 offset0:120 offset1:232
                                        ; implicit-def: $vgpr14
                                        ; implicit-def: $vgpr15
	s_and_saveexec_b64 s[2:3], s[0:1]
	s_cbranch_execz .LBB0_5
; %bb.4:
	ds_read_b32 v14, v53 offset:3136
	ds_read_b32 v15, v53 offset:6496
.LBB0_5:
	s_or_b64 exec, exec, s[2:3]
	s_waitcnt lgkmcnt(5)
	v_pk_add_f16 v19, v8, v3 neg_lo:[0,1] neg_hi:[0,1]
	s_load_dwordx2 s[4:5], s[4:5], 0x8
	v_add_co_u32_e32 v44, vcc, 0x70, v66
	s_movk_i32 s2, 0x150
	s_waitcnt lgkmcnt(0)
	v_pk_add_f16 v20, v9, v0 neg_lo:[0,1] neg_hi:[0,1]
	v_lshlrev_b32_e32 v72, 3, v66
	v_pk_fma_f16 v18, v8, 2.0, v19 op_sel_hi:[1,0,1] neg_lo:[0,0,1] neg_hi:[0,0,1]
	v_add_co_u32_e32 v43, vcc, 0xe0, v66
	v_add_co_u32_e32 v17, vcc, s2, v66
	s_movk_i32 s2, 0x1c0
	v_pk_add_f16 v21, v6, v1 neg_lo:[0,1] neg_hi:[0,1]
	v_pk_add_f16 v10, v7, v10 neg_lo:[0,1] neg_hi:[0,1]
	s_barrier
	ds_write_b64 v72, v[18:19]
	v_lshlrev_b32_e32 v73, 3, v44
	v_pk_fma_f16 v19, v9, 2.0, v20 op_sel_hi:[1,0,1] neg_lo:[0,0,1] neg_hi:[0,0,1]
	v_add_co_u32_e32 v16, vcc, s2, v66
	v_lshlrev_b32_e32 v22, 1, v66
	s_movk_i32 s2, 0x310
	v_pk_add_f16 v11, v4, v11 neg_lo:[0,1] neg_hi:[0,1]
	ds_write_b64 v73, v[19:20]
	v_lshlrev_b32_e32 v74, 3, v43
	v_pk_fma_f16 v20, v6, 2.0, v21 op_sel_hi:[1,0,1] neg_lo:[0,0,1] neg_hi:[0,0,1]
	v_lshlrev_b32_e32 v76, 3, v17
	v_pk_fma_f16 v9, v7, 2.0, v10 op_sel_hi:[1,0,1] neg_lo:[0,0,1] neg_hi:[0,0,1]
	v_add_co_u32_e32 v23, vcc, s2, v66
	v_pk_add_f16 v12, v5, v12 neg_lo:[0,1] neg_hi:[0,1]
	v_pk_add_f16 v3, v2, v13 neg_lo:[0,1] neg_hi:[0,1]
	;; [unrolled: 1-line block ×3, first 2 shown]
	ds_write_b64 v74, v[20:21]
	ds_write_b64 v76, v[9:10]
	v_lshlrev_b32_e32 v77, 3, v16
	v_pk_fma_f16 v10, v4, 2.0, v11 op_sel_hi:[1,0,1] neg_lo:[0,0,1] neg_hi:[0,0,1]
	v_lshlrev_b32_e32 v4, 2, v22
	v_pk_fma_f16 v0, v14, 2.0, v1 op_sel_hi:[1,0,1] neg_lo:[0,0,1] neg_hi:[0,0,1]
	v_lshlrev_b32_e32 v18, 1, v44
	v_lshlrev_b32_e32 v19, 1, v43
	;; [unrolled: 1-line block ×4, first 2 shown]
	ds_write_b64 v77, v[10:11]
	v_add_u32_e32 v78, 0x460, v22
	v_pk_fma_f16 v11, v5, 2.0, v12 op_sel_hi:[1,0,1] neg_lo:[0,0,1] neg_hi:[0,0,1]
	v_add_u32_e32 v79, 0x540, v22
	v_pk_fma_f16 v2, v2, 2.0, v3 op_sel_hi:[1,0,1] neg_lo:[0,0,1] neg_hi:[0,0,1]
	v_add_u32_e32 v4, 0x1000, v4
	v_lshlrev_b32_e32 v75, 3, v23
	ds_write2_b64 v4, v[11:12], v[2:3] offset0:48 offset1:160
	s_and_saveexec_b64 s[2:3], s[0:1]
	s_cbranch_execz .LBB0_7
; %bb.6:
	ds_write_b64 v75, v[0:1]
.LBB0_7:
	s_or_b64 exec, exec, s[2:3]
	v_add_u32_e32 v4, 0xe00, v53
	s_waitcnt lgkmcnt(0)
	s_barrier
	ds_read2_b32 v[14:15], v4 offset0:56 offset1:168
	v_add_u32_e32 v4, 0x200, v53
	ds_read2_b32 v[8:9], v4 offset0:96 offset1:208
	v_add_u32_e32 v4, 0x1200, v53
	v_add_u32_e32 v2, 0xa00, v53
	ds_read2_b32 v[12:13], v4 offset0:24 offset1:136
	v_add_u32_e32 v4, 0x600, v53
	v_add_u32_e32 v10, 0x1400, v53
	ds_read2_b32 v[6:7], v53 offset1:112
	ds_read2_b32 v[2:3], v2 offset0:32 offset1:200
	ds_read2_b32 v[4:5], v4 offset0:64 offset1:176
	;; [unrolled: 1-line block ×3, first 2 shown]
	s_and_saveexec_b64 s[2:3], s[0:1]
	s_cbranch_execz .LBB0_9
; %bb.8:
	ds_read_b32 v0, v53 offset:3136
	ds_read_b32 v1, v53 offset:6496
.LBB0_9:
	s_or_b64 exec, exec, s[2:3]
	v_and_b32_e32 v70, 1, v66
	v_lshlrev_b32_e32 v41, 2, v70
	global_load_dword v71, v41, s[4:5]
	s_waitcnt lgkmcnt(2)
	v_lshrrev_b32_e32 v28, 16, v3
	v_lshrrev_b32_e32 v30, 16, v14
	;; [unrolled: 1-line block ×5, first 2 shown]
	s_waitcnt lgkmcnt(0)
	v_lshrrev_b32_e32 v38, 16, v10
	v_lshrrev_b32_e32 v40, 16, v11
	;; [unrolled: 1-line block ×5, first 2 shown]
	s_movk_i32 s2, 0xfc
	s_waitcnt vmcnt(0)
	s_barrier
	v_lshrrev_b32_e32 v33, 16, v9
	v_lshrrev_b32_e32 v35, 16, v4
	;; [unrolled: 1-line block ×3, first 2 shown]
	s_movk_i32 s3, 0x5fc
	v_lshrrev_b32_e32 v39, 16, v2
	v_lshlrev_b32_e32 v69, 1, v23
	v_mul_f16_sdwa v41, v28, v71 dst_sel:DWORD dst_unused:UNUSED_PAD src0_sel:DWORD src1_sel:WORD_1
	v_fma_f16 v41, v3, v71, -v41
	v_mul_f16_sdwa v3, v3, v71 dst_sel:DWORD dst_unused:UNUSED_PAD src0_sel:DWORD src1_sel:WORD_1
	v_fma_f16 v3, v28, v71, v3
	v_mul_f16_sdwa v28, v30, v71 dst_sel:DWORD dst_unused:UNUSED_PAD src0_sel:DWORD src1_sel:WORD_1
	v_fma_f16 v28, v14, v71, -v28
	v_mul_f16_sdwa v14, v14, v71 dst_sel:DWORD dst_unused:UNUSED_PAD src0_sel:DWORD src1_sel:WORD_1
	v_fma_f16 v14, v30, v71, v14
	;; [unrolled: 4-line block ×7, first 2 shown]
	v_lshrrev_b32_e32 v40, 16, v1
	v_mul_f16_sdwa v42, v40, v71 dst_sel:DWORD dst_unused:UNUSED_PAD src0_sel:DWORD src1_sel:WORD_1
	v_fma_f16 v42, v1, v71, -v42
	v_mul_f16_sdwa v1, v1, v71 dst_sel:DWORD dst_unused:UNUSED_PAD src0_sel:DWORD src1_sel:WORD_1
	v_fma_f16 v1, v40, v71, v1
	v_sub_f16_e32 v40, v6, v41
	v_sub_f16_e32 v3, v27, v3
	;; [unrolled: 1-line block ×4, first 2 shown]
	v_fma_f16 v6, v6, 2.0, -v40
	v_fma_f16 v41, v27, 2.0, -v3
	v_sub_f16_e32 v45, v7, v28
	v_sub_f16_e32 v47, v31, v15
	v_lshrrev_b32_e32 v28, 16, v0
	v_fma_f16 v15, v0, 2.0, -v14
	v_and_or_b32 v0, v22, s2, v70
	v_sub_f16_e32 v27, v28, v1
	v_lshlrev_b32_e32 v81, 2, v0
	v_pack_b32_f16 v0, v6, v41
	v_pack_b32_f16 v1, v40, v3
	s_movk_i32 s2, 0x1fc
	v_fma_f16 v7, v7, 2.0, -v45
	v_fma_f16 v29, v29, 2.0, -v46
	ds_write2_b32 v81, v0, v1 offset1:2
	v_and_or_b32 v0, v18, s2, v70
	v_sub_f16_e32 v30, v8, v30
	v_lshlrev_b32_e32 v82, 2, v0
	v_pack_b32_f16 v0, v7, v29
	v_pack_b32_f16 v1, v45, v46
	s_movk_i32 s2, 0x3fc
	v_fma_f16 v8, v8, 2.0, -v30
	v_fma_f16 v31, v31, 2.0, -v47
	ds_write2_b32 v82, v0, v1 offset1:2
	v_and_or_b32 v0, v19, s2, v70
	v_sub_f16_e32 v32, v9, v32
	v_sub_f16_e32 v12, v33, v12
	v_lshlrev_b32_e32 v84, 2, v0
	v_pack_b32_f16 v0, v8, v31
	v_pack_b32_f16 v1, v30, v47
	v_fma_f16 v9, v9, 2.0, -v32
	v_fma_f16 v33, v33, 2.0, -v12
	ds_write2_b32 v84, v0, v1 offset1:2
	v_and_or_b32 v0, v20, s2, v70
	v_sub_f16_e32 v34, v4, v34
	v_sub_f16_e32 v13, v35, v13
	v_lshlrev_b32_e32 v85, 2, v0
	v_pack_b32_f16 v0, v9, v33
	v_pack_b32_f16 v1, v32, v12
	s_movk_i32 s2, 0x7fc
	v_fma_f16 v4, v4, 2.0, -v34
	v_fma_f16 v35, v35, 2.0, -v13
	ds_write2_b32 v85, v0, v1 offset1:2
	v_and_or_b32 v0, v21, s2, v70
	v_sub_f16_e32 v36, v5, v36
	v_sub_f16_e32 v10, v37, v10
	v_lshlrev_b32_e32 v86, 2, v0
	v_pack_b32_f16 v0, v4, v35
	v_pack_b32_f16 v1, v34, v13
	v_fma_f16 v5, v5, 2.0, -v36
	v_fma_f16 v37, v37, 2.0, -v10
	ds_write2_b32 v86, v0, v1 offset1:2
	v_and_or_b32 v0, v78, s3, v70
	v_sub_f16_e32 v38, v2, v38
	v_sub_f16_e32 v11, v39, v11
	v_lshlrev_b32_e32 v87, 2, v0
	v_pack_b32_f16 v0, v5, v37
	v_pack_b32_f16 v1, v36, v10
	v_fma_f16 v2, v2, 2.0, -v38
	v_fma_f16 v39, v39, 2.0, -v11
	ds_write2_b32 v87, v0, v1 offset1:2
	v_and_or_b32 v0, v79, s2, v70
	v_fma_f16 v28, v28, 2.0, -v27
	v_lshlrev_b32_e32 v88, 2, v0
	v_pack_b32_f16 v0, v2, v39
	v_pack_b32_f16 v1, v38, v11
	ds_write2_b32 v88, v0, v1 offset1:2
	s_and_saveexec_b64 s[2:3], s[0:1]
	s_cbranch_execz .LBB0_11
; %bb.10:
	s_movk_i32 s14, 0x6fc
	v_and_or_b32 v0, v69, s14, v70
	s_mov_b32 s14, 0x5040100
	v_lshlrev_b32_e32 v0, 2, v0
	v_perm_b32 v1, v28, v15, s14
	v_perm_b32 v2, v27, v14, s14
	ds_write2_b32 v0, v1, v2 offset1:2
.LBB0_11:
	s_or_b64 exec, exec, s[2:3]
	v_add_u32_e32 v2, 0xe00, v53
	s_waitcnt lgkmcnt(0)
	s_barrier
	ds_read2_b32 v[12:13], v2 offset0:56 offset1:168
	v_add_u32_e32 v2, 0x200, v53
	ds_read2_b32 v[6:7], v2 offset0:96 offset1:208
	v_add_u32_e32 v2, 0x1200, v53
	v_add_u32_e32 v0, 0xa00, v53
	ds_read2_b32 v[10:11], v2 offset0:24 offset1:136
	v_add_u32_e32 v2, 0x600, v53
	v_add_u32_e32 v8, 0x1400, v53
	ds_read2_b32 v[4:5], v53 offset1:112
	ds_read2_b32 v[0:1], v0 offset0:32 offset1:200
	ds_read2_b32 v[2:3], v2 offset0:64 offset1:176
	;; [unrolled: 1-line block ×3, first 2 shown]
	s_and_saveexec_b64 s[2:3], s[0:1]
	s_cbranch_execz .LBB0_13
; %bb.12:
	ds_read_b32 v15, v53 offset:3136
	ds_read_b32 v14, v53 offset:6496
	s_waitcnt lgkmcnt(1)
	v_lshrrev_b32_e32 v28, 16, v15
	s_waitcnt lgkmcnt(0)
	v_lshrrev_b32_e32 v27, 16, v14
.LBB0_13:
	s_or_b64 exec, exec, s[2:3]
	v_and_b32_e32 v80, 3, v66
	v_lshlrev_b32_e32 v42, 2, v80
	global_load_dword v83, v42, s[4:5] offset:8
	s_waitcnt lgkmcnt(2)
	v_lshrrev_b32_e32 v29, 16, v1
	v_lshrrev_b32_e32 v31, 16, v12
	;; [unrolled: 1-line block ×5, first 2 shown]
	s_waitcnt lgkmcnt(0)
	v_lshrrev_b32_e32 v39, 16, v8
	v_lshrrev_b32_e32 v41, 16, v9
	v_lshrrev_b32_e32 v23, 16, v4
	s_movk_i32 s2, 0xf8
	v_lshrrev_b32_e32 v30, 16, v5
	v_lshrrev_b32_e32 v32, 16, v6
	s_waitcnt vmcnt(0)
	s_barrier
	v_lshrrev_b32_e32 v34, 16, v7
	v_lshrrev_b32_e32 v36, 16, v2
	;; [unrolled: 1-line block ×3, first 2 shown]
	s_movk_i32 s3, 0x5f8
	v_lshrrev_b32_e32 v40, 16, v0
	v_mul_f16_sdwa v42, v29, v83 dst_sel:DWORD dst_unused:UNUSED_PAD src0_sel:DWORD src1_sel:WORD_1
	v_fma_f16 v42, v1, v83, -v42
	v_mul_f16_sdwa v1, v1, v83 dst_sel:DWORD dst_unused:UNUSED_PAD src0_sel:DWORD src1_sel:WORD_1
	v_fma_f16 v1, v29, v83, v1
	v_mul_f16_sdwa v29, v31, v83 dst_sel:DWORD dst_unused:UNUSED_PAD src0_sel:DWORD src1_sel:WORD_1
	v_fma_f16 v29, v12, v83, -v29
	v_mul_f16_sdwa v12, v12, v83 dst_sel:DWORD dst_unused:UNUSED_PAD src0_sel:DWORD src1_sel:WORD_1
	v_fma_f16 v12, v31, v83, v12
	;; [unrolled: 4-line block ×8, first 2 shown]
	v_sub_f16_e32 v1, v23, v1
	v_sub_f16_e32 v42, v4, v42
	v_fma_f16 v45, v23, 2.0, -v1
	v_sub_f16_e32 v23, v15, v41
	v_sub_f16_e32 v27, v28, v14
	v_fma_f16 v4, v4, 2.0, -v42
	v_fma_f16 v14, v15, 2.0, -v23
	;; [unrolled: 1-line block ×3, first 2 shown]
	v_and_or_b32 v28, v22, s2, v80
	v_sub_f16_e32 v29, v5, v29
	v_sub_f16_e32 v12, v30, v12
	v_lshlrev_b32_e32 v91, 2, v28
	v_pack_b32_f16 v4, v4, v45
	v_pack_b32_f16 v1, v42, v1
	s_movk_i32 s2, 0x1f8
	v_fma_f16 v5, v5, 2.0, -v29
	v_fma_f16 v30, v30, 2.0, -v12
	ds_write2_b32 v91, v4, v1 offset1:4
	v_and_or_b32 v1, v18, s2, v80
	v_sub_f16_e32 v31, v6, v31
	v_sub_f16_e32 v13, v32, v13
	v_lshlrev_b32_e32 v92, 2, v1
	v_pack_b32_f16 v1, v5, v30
	v_pack_b32_f16 v4, v29, v12
	s_movk_i32 s2, 0x3f8
	v_fma_f16 v6, v6, 2.0, -v31
	v_fma_f16 v32, v32, 2.0, -v13
	ds_write2_b32 v92, v1, v4 offset1:4
	v_and_or_b32 v1, v19, s2, v80
	v_sub_f16_e32 v33, v7, v33
	v_sub_f16_e32 v10, v34, v10
	v_lshlrev_b32_e32 v93, 2, v1
	v_pack_b32_f16 v1, v6, v32
	v_pack_b32_f16 v4, v31, v13
	v_fma_f16 v7, v7, 2.0, -v33
	v_fma_f16 v34, v34, 2.0, -v10
	ds_write2_b32 v93, v1, v4 offset1:4
	v_and_or_b32 v1, v20, s2, v80
	v_sub_f16_e32 v35, v2, v35
	v_sub_f16_e32 v11, v36, v11
	v_lshlrev_b32_e32 v94, 2, v1
	v_pack_b32_f16 v1, v7, v34
	v_pack_b32_f16 v4, v33, v10
	s_movk_i32 s2, 0x7f8
	v_fma_f16 v2, v2, 2.0, -v35
	v_fma_f16 v36, v36, 2.0, -v11
	ds_write2_b32 v94, v1, v4 offset1:4
	v_and_or_b32 v1, v21, s2, v80
	v_sub_f16_e32 v37, v3, v37
	v_sub_f16_e32 v8, v38, v8
	v_lshlrev_b32_e32 v95, 2, v1
	v_pack_b32_f16 v1, v2, v36
	v_pack_b32_f16 v2, v35, v11
	v_fma_f16 v3, v3, 2.0, -v37
	v_fma_f16 v38, v38, 2.0, -v8
	ds_write2_b32 v95, v1, v2 offset1:4
	v_and_or_b32 v1, v78, s3, v80
	v_sub_f16_e32 v39, v0, v39
	v_sub_f16_e32 v9, v40, v9
	v_lshlrev_b32_e32 v96, 2, v1
	v_pack_b32_f16 v1, v3, v38
	v_pack_b32_f16 v2, v37, v8
	v_fma_f16 v0, v0, 2.0, -v39
	v_fma_f16 v40, v40, 2.0, -v9
	ds_write2_b32 v96, v1, v2 offset1:4
	v_and_or_b32 v1, v79, s2, v80
	v_lshlrev_b32_e32 v97, 2, v1
	v_pack_b32_f16 v0, v0, v40
	v_pack_b32_f16 v1, v39, v9
	ds_write2_b32 v97, v0, v1 offset1:4
	s_and_saveexec_b64 s[2:3], s[0:1]
	s_cbranch_execz .LBB0_15
; %bb.14:
	s_movk_i32 s14, 0x6f8
	v_and_or_b32 v0, v69, s14, v80
	s_mov_b32 s14, 0x5040100
	v_lshlrev_b32_e32 v0, 2, v0
	v_perm_b32 v1, v15, v14, s14
	v_perm_b32 v2, v27, v23, s14
	ds_write2_b32 v0, v1, v2 offset1:4
.LBB0_15:
	s_or_b64 exec, exec, s[2:3]
	v_add_u32_e32 v4, 0xe00, v53
	v_add_u32_e32 v6, 0x1200, v53
	s_waitcnt lgkmcnt(0)
	s_barrier
	v_add_u32_e32 v0, 0xa00, v53
	ds_read2_b32 v[8:9], v4 offset0:56 offset1:168
	v_add_u32_e32 v4, 0x200, v53
	ds_read2_b32 v[10:11], v6 offset0:24 offset1:136
	v_add_u32_e32 v6, 0x600, v53
	v_add_u32_e32 v12, 0x1400, v53
	ds_read2_b32 v[2:3], v53 offset1:112
	ds_read2_b32 v[0:1], v0 offset0:32 offset1:200
	ds_read2_b32 v[4:5], v4 offset0:96 offset1:208
	;; [unrolled: 1-line block ×4, first 2 shown]
	s_and_saveexec_b64 s[2:3], s[0:1]
	s_cbranch_execz .LBB0_17
; %bb.16:
	ds_read_b32 v14, v53 offset:3136
	ds_read_b32 v23, v53 offset:6496
	s_waitcnt lgkmcnt(1)
	v_lshrrev_b32_e32 v15, 16, v14
	s_waitcnt lgkmcnt(0)
	v_lshrrev_b32_e32 v27, 16, v23
.LBB0_17:
	s_or_b64 exec, exec, s[2:3]
	v_and_b32_e32 v89, 7, v66
	v_lshlrev_b32_e32 v28, 2, v89
	global_load_dword v90, v28, s[4:5] offset:24
	s_movk_i32 s2, 0xf0
	s_waitcnt lgkmcnt(3)
	v_lshrrev_b32_e32 v29, 16, v1
	v_and_or_b32 v22, v22, s2, v89
	s_waitcnt lgkmcnt(0)
	v_lshrrev_b32_e32 v41, 16, v13
	v_lshlrev_b32_e32 v98, 2, v22
	v_lshrrev_b32_e32 v28, 16, v2
	v_lshrrev_b32_e32 v31, 16, v8
	;; [unrolled: 1-line block ×7, first 2 shown]
	s_movk_i32 s2, 0x1f0
	v_lshrrev_b32_e32 v32, 16, v4
	s_waitcnt vmcnt(0)
	s_barrier
	v_lshrrev_b32_e32 v34, 16, v5
	v_lshrrev_b32_e32 v36, 16, v6
	;; [unrolled: 1-line block ×3, first 2 shown]
	s_movk_i32 s3, 0x5f0
	v_lshrrev_b32_e32 v40, 16, v0
	v_mul_f16_sdwa v22, v29, v90 dst_sel:DWORD dst_unused:UNUSED_PAD src0_sel:DWORD src1_sel:WORD_1
	v_mul_f16_sdwa v42, v1, v90 dst_sel:DWORD dst_unused:UNUSED_PAD src0_sel:DWORD src1_sel:WORD_1
	;; [unrolled: 1-line block ×4, first 2 shown]
	v_fma_f16 v1, v1, v90, -v22
	v_fma_f16 v22, v29, v90, v42
	v_mul_f16_sdwa v45, v31, v90 dst_sel:DWORD dst_unused:UNUSED_PAD src0_sel:DWORD src1_sel:WORD_1
	v_mul_f16_sdwa v46, v8, v90 dst_sel:DWORD dst_unused:UNUSED_PAD src0_sel:DWORD src1_sel:WORD_1
	;; [unrolled: 1-line block ×8, first 2 shown]
	v_fma_f16 v13, v13, v90, -v101
	v_fma_f16 v23, v23, v90, -v103
	v_sub_f16_e32 v1, v2, v1
	v_sub_f16_e32 v22, v28, v22
	v_mul_f16_sdwa v47, v33, v90 dst_sel:DWORD dst_unused:UNUSED_PAD src0_sel:DWORD src1_sel:WORD_1
	v_mul_f16_sdwa v49, v35, v90 dst_sel:DWORD dst_unused:UNUSED_PAD src0_sel:DWORD src1_sel:WORD_1
	;; [unrolled: 1-line block ×4, first 2 shown]
	v_fma_f16 v8, v8, v90, -v45
	v_fma_f16 v29, v31, v90, v46
	v_fma_f16 v31, v33, v90, v48
	;; [unrolled: 1-line block ×6, first 2 shown]
	v_sub_f16_e32 v41, v0, v13
	v_sub_f16_e32 v13, v14, v23
	v_fma_f16 v2, v2, 2.0, -v1
	v_fma_f16 v23, v28, 2.0, -v22
	v_fma_f16 v27, v27, v90, v104
	v_sub_f16_e32 v8, v3, v8
	v_sub_f16_e32 v29, v30, v29
	v_pack_b32_f16 v1, v1, v22
	v_pack_b32_f16 v2, v2, v23
	v_fma_f16 v9, v9, v90, -v47
	v_sub_f16_e32 v45, v15, v27
	v_fma_f16 v3, v3, 2.0, -v8
	v_fma_f16 v27, v30, 2.0, -v29
	ds_write2_b32 v98, v2, v1 offset1:8
	v_and_or_b32 v1, v18, s2, v89
	v_fma_f16 v12, v12, v90, -v99
	v_sub_f16_e32 v9, v4, v9
	v_sub_f16_e32 v31, v32, v31
	v_lshlrev_b32_e32 v99, 2, v1
	v_pack_b32_f16 v1, v3, v27
	v_pack_b32_f16 v2, v8, v29
	s_movk_i32 s2, 0x3f0
	v_fma_f16 v10, v10, v90, -v49
	v_fma_f16 v4, v4, 2.0, -v9
	v_fma_f16 v28, v32, 2.0, -v31
	ds_write2_b32 v99, v1, v2 offset1:8
	v_and_or_b32 v1, v19, s2, v89
	v_sub_f16_e32 v10, v5, v10
	v_sub_f16_e32 v33, v34, v33
	v_lshlrev_b32_e32 v100, 2, v1
	v_pack_b32_f16 v1, v4, v28
	v_pack_b32_f16 v2, v9, v31
	v_fma_f16 v11, v11, v90, -v51
	v_fma_f16 v5, v5, 2.0, -v10
	v_fma_f16 v30, v34, 2.0, -v33
	ds_write2_b32 v100, v1, v2 offset1:8
	v_and_or_b32 v1, v20, s2, v89
	v_sub_f16_e32 v11, v6, v11
	v_sub_f16_e32 v35, v36, v35
	v_lshlrev_b32_e32 v101, 2, v1
	v_pack_b32_f16 v1, v5, v30
	v_pack_b32_f16 v2, v10, v33
	s_movk_i32 s2, 0x7f0
	v_fma_f16 v6, v6, 2.0, -v11
	v_fma_f16 v32, v36, 2.0, -v35
	ds_write2_b32 v101, v1, v2 offset1:8
	v_and_or_b32 v1, v21, s2, v89
	v_sub_f16_e32 v12, v7, v12
	v_sub_f16_e32 v37, v38, v37
	v_lshlrev_b32_e32 v102, 2, v1
	v_pack_b32_f16 v1, v6, v32
	v_pack_b32_f16 v2, v11, v35
	v_fma_f16 v7, v7, 2.0, -v12
	v_fma_f16 v34, v38, 2.0, -v37
	ds_write2_b32 v102, v1, v2 offset1:8
	v_and_or_b32 v1, v78, s3, v89
	v_sub_f16_e32 v39, v40, v39
	v_lshlrev_b32_e32 v103, 2, v1
	v_pack_b32_f16 v1, v7, v34
	v_pack_b32_f16 v2, v12, v37
	v_fma_f16 v0, v0, 2.0, -v41
	v_fma_f16 v36, v40, 2.0, -v39
	ds_write2_b32 v103, v1, v2 offset1:8
	v_and_or_b32 v1, v79, s2, v89
	v_lshlrev_b32_e32 v104, 2, v1
	v_pack_b32_f16 v0, v0, v36
	v_pack_b32_f16 v1, v41, v39
	ds_write2_b32 v104, v0, v1 offset1:8
	s_and_saveexec_b64 s[2:3], s[0:1]
	s_cbranch_execz .LBB0_19
; %bb.18:
	s_movk_i32 s14, 0x6f0
	v_fma_f16 v0, v14, 2.0, -v13
	v_fma_f16 v1, v15, 2.0, -v45
	v_and_or_b32 v2, v69, s14, v89
	s_mov_b32 s14, 0x5040100
	v_lshlrev_b32_e32 v2, 2, v2
	v_pack_b32_f16 v0, v0, v1
	v_perm_b32 v1, v45, v13, s14
	ds_write2_b32 v2, v0, v1 offset1:8
.LBB0_19:
	s_or_b64 exec, exec, s[2:3]
	v_and_b32_e32 v18, 15, v66
	v_lshlrev_b32_e32 v0, 3, v18
	s_waitcnt lgkmcnt(0)
	s_barrier
	global_load_dwordx2 v[29:30], v0, s[4:5] offset:56
	ds_read2_b32 v[0:1], v53 offset1:112
	v_add_u32_e32 v19, 0x600, v53
	v_add_u32_e32 v4, 0x1000, v53
	;; [unrolled: 1-line block ×6, first 2 shown]
	ds_read_b32 v22, v53 offset:6272
	ds_read2_b32 v[2:3], v19 offset0:64 offset1:176
	ds_read2_b32 v[4:5], v4 offset0:96 offset1:208
	;; [unrolled: 1-line block ×6, first 2 shown]
	s_waitcnt lgkmcnt(5)
	v_lshrrev_b32_e32 v28, 16, v3
	s_waitcnt lgkmcnt(4)
	v_lshrrev_b32_e32 v31, 16, v4
	v_lshrrev_b32_e32 v12, 16, v0
	s_waitcnt lgkmcnt(3)
	v_lshrrev_b32_e32 v32, 16, v6
	v_lshrrev_b32_e32 v33, 16, v5
	s_movk_i32 s2, 0x3aee
	s_mov_b32 s3, 0xbaee
	v_lshrrev_b32_e32 v23, 16, v1
	v_lshrrev_b32_e32 v35, 16, v7
	s_waitcnt lgkmcnt(1)
	v_lshrrev_b32_e32 v36, 16, v10
	v_lshrrev_b32_e32 v34, 16, v8
	s_waitcnt lgkmcnt(0)
	v_lshrrev_b32_e32 v38, 16, v14
	v_lshrrev_b32_e32 v39, 16, v11
	v_lshrrev_b32_e32 v37, 16, v9
	v_lshrrev_b32_e32 v41, 16, v15
	v_lshrrev_b32_e32 v27, 16, v22
	v_lshrrev_b32_e32 v40, 16, v2
	s_waitcnt vmcnt(0)
	s_barrier
	v_mul_f16_sdwa v46, v3, v29 dst_sel:DWORD dst_unused:UNUSED_PAD src0_sel:DWORD src1_sel:WORD_1
	v_mul_f16_sdwa v48, v4, v30 dst_sel:DWORD dst_unused:UNUSED_PAD src0_sel:DWORD src1_sel:WORD_1
	;; [unrolled: 1-line block ×4, first 2 shown]
	v_fma_f16 v28, v28, v29, v46
	v_fma_f16 v31, v31, v30, v48
	v_mul_f16_sdwa v49, v32, v29 dst_sel:DWORD dst_unused:UNUSED_PAD src0_sel:DWORD src1_sel:WORD_1
	v_fma_f16 v3, v3, v29, -v42
	v_fma_f16 v4, v4, v30, -v47
	v_sub_f16_e32 v47, v28, v31
	v_add_f16_e32 v48, v12, v28
	v_add_f16_e32 v28, v28, v31
	v_mul_f16_sdwa v50, v6, v29 dst_sel:DWORD dst_unused:UNUSED_PAD src0_sel:DWORD src1_sel:WORD_1
	v_mul_f16_sdwa v51, v33, v30 dst_sel:DWORD dst_unused:UNUSED_PAD src0_sel:DWORD src1_sel:WORD_1
	v_fma_f16 v6, v6, v29, -v49
	v_add_f16_e32 v42, v0, v3
	v_add_f16_e32 v46, v3, v4
	v_fma_f16 v12, v28, -0.5, v12
	v_sub_f16_e32 v3, v3, v4
	v_mul_f16_sdwa v52, v5, v30 dst_sel:DWORD dst_unused:UNUSED_PAD src0_sel:DWORD src1_sel:WORD_1
	v_fma_f16 v5, v5, v30, -v51
	v_add_f16_e32 v42, v42, v4
	v_fma_f16 v4, v3, s3, v12
	v_fma_f16 v3, v3, s2, v12
	v_add_f16_e32 v12, v1, v6
	v_fma_f16 v32, v32, v29, v50
	v_fma_f16 v33, v33, v30, v52
	v_add_f16_e32 v28, v12, v5
	v_add_f16_e32 v12, v6, v5
	v_fma_f16 v0, v46, -0.5, v0
	v_fma_f16 v1, v12, -0.5, v1
	v_sub_f16_e32 v12, v32, v33
	v_add_f16_e32 v31, v48, v31
	v_fma_f16 v48, v47, s2, v0
	v_fma_f16 v0, v47, s3, v0
	;; [unrolled: 1-line block ×4, first 2 shown]
	v_add_f16_e32 v12, v23, v32
	v_mul_f16_sdwa v105, v35, v29 dst_sel:DWORD dst_unused:UNUSED_PAD src0_sel:DWORD src1_sel:WORD_1
	v_add_f16_e32 v49, v12, v33
	v_add_f16_e32 v12, v32, v33
	v_mul_f16_sdwa v106, v7, v29 dst_sel:DWORD dst_unused:UNUSED_PAD src0_sel:DWORD src1_sel:WORD_1
	v_mul_f16_sdwa v107, v36, v30 dst_sel:DWORD dst_unused:UNUSED_PAD src0_sel:DWORD src1_sel:WORD_1
	v_fma_f16 v7, v7, v29, -v105
	v_fma_f16 v12, v12, -0.5, v23
	v_sub_f16_e32 v5, v6, v5
	v_mul_f16_sdwa v108, v10, v30 dst_sel:DWORD dst_unused:UNUSED_PAD src0_sel:DWORD src1_sel:WORD_1
	v_fma_f16 v10, v10, v30, -v107
	v_fma_f16 v6, v5, s3, v12
	v_fma_f16 v5, v5, s2, v12
	v_add_f16_e32 v12, v8, v7
	v_fma_f16 v35, v35, v29, v106
	v_fma_f16 v36, v36, v30, v108
	v_add_f16_e32 v23, v12, v10
	v_add_f16_e32 v12, v7, v10
	v_fma_f16 v8, v12, -0.5, v8
	v_sub_f16_e32 v12, v35, v36
	v_fma_f16 v32, v12, s2, v8
	v_fma_f16 v8, v12, s3, v8
	v_add_f16_e32 v12, v34, v35
	v_mul_f16_sdwa v109, v38, v29 dst_sel:DWORD dst_unused:UNUSED_PAD src0_sel:DWORD src1_sel:WORD_1
	v_add_f16_e32 v33, v12, v36
	v_add_f16_e32 v12, v35, v36
	v_mul_f16_sdwa v110, v14, v29 dst_sel:DWORD dst_unused:UNUSED_PAD src0_sel:DWORD src1_sel:WORD_1
	v_mul_f16_sdwa v111, v39, v30 dst_sel:DWORD dst_unused:UNUSED_PAD src0_sel:DWORD src1_sel:WORD_1
	v_fma_f16 v14, v14, v29, -v109
	v_fma_f16 v12, v12, -0.5, v34
	v_sub_f16_e32 v7, v7, v10
	v_mul_f16_sdwa v112, v11, v30 dst_sel:DWORD dst_unused:UNUSED_PAD src0_sel:DWORD src1_sel:WORD_1
	v_fma_f16 v11, v11, v30, -v111
	v_fma_f16 v10, v7, s3, v12
	v_fma_f16 v7, v7, s2, v12
	v_add_f16_e32 v12, v9, v14
	v_fma_f16 v38, v38, v29, v110
	v_fma_f16 v39, v39, v30, v112
	v_add_f16_e32 v34, v12, v11
	v_add_f16_e32 v12, v14, v11
	v_fma_f16 v9, v12, -0.5, v9
	v_sub_f16_e32 v12, v38, v39
	v_fma_f16 v35, v12, s2, v9
	v_fma_f16 v9, v12, s3, v9
	;; [unrolled: 22-line block ×3, first 2 shown]
	v_add_f16_e32 v2, v40, v41
	v_add_f16_e32 v2, v2, v27
	;; [unrolled: 1-line block ×3, first 2 shown]
	v_fma_f16 v27, v27, -0.5, v40
	v_sub_f16_e32 v15, v15, v22
	v_fma_f16 v22, v15, s3, v27
	v_fma_f16 v46, v15, s2, v27
	v_lshrrev_b32_e32 v15, 4, v66
	v_mul_u32_u24_e32 v15, 48, v15
	v_or_b32_e32 v15, v15, v18
	v_lshlrev_b32_e32 v105, 2, v15
	v_pack_b32_f16 v0, v0, v3
	ds_write_b32 v105, v0 offset:128
	v_lshrrev_b32_e32 v0, 4, v44
	v_mul_u32_u24_e32 v0, 48, v0
	v_or_b32_e32 v0, v0, v18
	v_pack_b32_f16 v15, v42, v31
	v_pack_b32_f16 v4, v48, v4
	v_lshlrev_b32_e32 v106, 2, v0
	v_pack_b32_f16 v0, v28, v49
	v_pack_b32_f16 v3, v47, v6
	ds_write2_b32 v105, v15, v4 offset1:16
	ds_write2_b32 v106, v0, v3 offset1:16
	v_pack_b32_f16 v0, v1, v5
	ds_write_b32 v106, v0 offset:128
	v_lshrrev_b32_e32 v0, 4, v43
	v_mul_u32_u24_e32 v0, 48, v0
	v_or_b32_e32 v0, v0, v18
	v_lshlrev_b32_e32 v107, 2, v0
	v_pack_b32_f16 v0, v23, v33
	v_pack_b32_f16 v1, v32, v10
	ds_write2_b32 v107, v0, v1 offset1:16
	v_pack_b32_f16 v0, v8, v7
	ds_write_b32 v107, v0 offset:128
	v_lshrrev_b32_e32 v0, 4, v17
	v_mul_u32_u24_e32 v0, 48, v0
	v_or_b32_e32 v0, v0, v18
	v_lshlrev_b32_e32 v108, 2, v0
	v_pack_b32_f16 v0, v34, v36
	v_pack_b32_f16 v1, v35, v14
	;; [unrolled: 9-line block ×3, first 2 shown]
	ds_write2_b32 v109, v0, v1 offset1:16
	v_pack_b32_f16 v0, v12, v46
	ds_write_b32 v109, v0 offset:128
	v_add_u32_e32 v0, 0xe00, v53
	s_waitcnt lgkmcnt(0)
	s_barrier
	ds_read2_b32 v[14:15], v53 offset1:112
	ds_read2_b32 v[16:17], v21 offset0:112 offset1:224
	ds_read2_b32 v[18:19], v19 offset0:96 offset1:208
	;; [unrolled: 1-line block ×4, first 2 shown]
	v_add_u32_e32 v0, 0x1200, v53
	ds_read2_b32 v[35:36], v0 offset0:48 offset1:160
	v_add_u32_e32 v0, 0x1600, v53
	ds_read2_b32 v[37:38], v0 offset0:32 offset1:144
	v_cmp_gt_u16_e64 s[2:3], 16, v66
                                        ; implicit-def: $vgpr42
                                        ; implicit-def: $vgpr50
                                        ; implicit-def: $vgpr40
                                        ; implicit-def: $vgpr48
                                        ; implicit-def: $vgpr47
                                        ; implicit-def: $vgpr49
                                        ; implicit-def: $vgpr51
                                        ; implicit-def: $vgpr52
	s_and_saveexec_b64 s[14:15], s[2:3]
	s_cbranch_execz .LBB0_21
; %bb.20:
	v_add_u32_e32 v0, 0x380, v53
	ds_read2_b32 v[12:13], v0 offset1:240
	v_add_u32_e32 v0, 0xb00, v53
	v_add_u32_e32 v1, 0x1280, v53
	ds_read2_b32 v[41:42], v0 offset1:240
	ds_read2_b32 v[39:40], v1 offset1:240
	ds_read_b32 v47, v53 offset:6656
	s_waitcnt lgkmcnt(3)
	v_lshrrev_b32_e32 v46, 16, v12
	v_lshrrev_b32_e32 v45, 16, v13
	s_waitcnt lgkmcnt(2)
	v_lshrrev_b32_e32 v52, 16, v41
	v_lshrrev_b32_e32 v50, 16, v42
	;; [unrolled: 3-line block ×3, first 2 shown]
	s_waitcnt lgkmcnt(0)
	v_lshrrev_b32_e32 v49, 16, v47
.LBB0_21:
	s_or_b64 exec, exec, s[14:15]
	s_movk_i32 s16, 0xab
	v_mul_lo_u16_sdwa v0, v66, s16 dst_sel:DWORD dst_unused:UNUSED_PAD src0_sel:BYTE_0 src1_sel:DWORD
	v_lshrrev_b16_e32 v117, 13, v0
	v_mul_lo_u16_sdwa v2, v44, s16 dst_sel:DWORD dst_unused:UNUSED_PAD src0_sel:BYTE_0 src1_sel:DWORD
	v_mul_lo_u16_e32 v0, 48, v117
	v_lshrrev_b16_e32 v121, 13, v2
	v_sub_u16_e32 v0, v66, v0
	v_mul_lo_u16_e32 v2, 48, v121
	v_and_b32_e32 v118, 0xff, v0
	v_sub_u16_e32 v2, v44, v2
	v_mad_u64_u32 v[0:1], s[14:15], v118, 24, s[4:5]
	v_and_b32_e32 v122, 0xff, v2
	v_mad_u64_u32 v[2:3], s[14:15], v122, 24, s[4:5]
	s_mov_b32 s14, 0xaaab
	global_load_dwordx4 v[4:7], v[0:1], off offset:184
	global_load_dwordx2 v[33:34], v[0:1], off offset:200
	global_load_dwordx4 v[8:11], v[2:3], off offset:184
	global_load_dwordx2 v[31:32], v[2:3], off offset:200
	v_mul_u32_u24_sdwa v1, v43, s14 dst_sel:DWORD dst_unused:UNUSED_PAD src0_sel:WORD_0 src1_sel:DWORD
	v_lshrrev_b32_e32 v1, 21, v1
	v_mul_lo_u16_e32 v1, 48, v1
	v_sub_u16_e32 v123, v43, v1
	v_mul_lo_u16_e32 v1, 24, v123
	v_mov_b32_e32 v0, s5
	v_add_co_u32_e32 v110, vcc, s4, v1
	v_addc_co_u32_e32 v111, vcc, 0, v0, vcc
	global_load_dwordx4 v[0:3], v[110:111], off offset:184
	global_load_dwordx2 v[27:28], v[110:111], off offset:200
	s_waitcnt lgkmcnt(5)
	v_lshrrev_b32_e32 v110, 16, v16
	s_waitcnt lgkmcnt(4)
	v_lshrrev_b32_e32 v111, 16, v18
	;; [unrolled: 2-line block ×4, first 2 shown]
	v_lshrrev_b32_e32 v112, 16, v20
	v_lshrrev_b32_e32 v113, 16, v22
	;; [unrolled: 1-line block ×6, first 2 shown]
	s_movk_i32 s14, 0x2b26
	s_movk_i32 s15, 0x3b00
	s_mov_b32 s16, 0xbcab
	s_movk_i32 s18, 0x39e0
	s_mov_b32 s19, 0xb9e0
	;; [unrolled: 2-line block ×3, first 2 shown]
	v_lshrrev_b32_e32 v120, 16, v21
	v_lshrrev_b32_e32 v124, 16, v23
	s_movk_i32 s22, 0x370e
	s_waitcnt vmcnt(0)
	s_barrier
	v_mul_f16_sdwa v135, v114, v33 dst_sel:DWORD dst_unused:UNUSED_PAD src0_sel:DWORD src1_sel:WORD_1
	v_mul_f16_sdwa v127, v110, v4 dst_sel:DWORD dst_unused:UNUSED_PAD src0_sel:DWORD src1_sel:WORD_1
	;; [unrolled: 1-line block ×3, first 2 shown]
	v_fma_f16 v16, v16, v4, -v127
	v_mul_f16_sdwa v129, v111, v5 dst_sel:DWORD dst_unused:UNUSED_PAD src0_sel:DWORD src1_sel:WORD_1
	v_mul_f16_sdwa v130, v18, v5 dst_sel:DWORD dst_unused:UNUSED_PAD src0_sel:DWORD src1_sel:WORD_1
	;; [unrolled: 1-line block ×9, first 2 shown]
	v_fma_f16 v127, v13, v0, -v127
	v_mul_f16_sdwa v13, v13, v0 dst_sel:DWORD dst_unused:UNUSED_PAD src0_sel:DWORD src1_sel:WORD_1
	v_fma_f16 v13, v45, v0, v13
	v_mul_f16_sdwa v45, v52, v1 dst_sel:DWORD dst_unused:UNUSED_PAD src0_sel:DWORD src1_sel:WORD_1
	v_fma_f16 v45, v41, v1, -v45
	v_mul_f16_sdwa v41, v41, v1 dst_sel:DWORD dst_unused:UNUSED_PAD src0_sel:DWORD src1_sel:WORD_1
	v_fma_f16 v41, v52, v1, v41
	v_mul_f16_sdwa v52, v50, v2 dst_sel:DWORD dst_unused:UNUSED_PAD src0_sel:DWORD src1_sel:WORD_1
	;; [unrolled: 4-line block ×5, first 2 shown]
	v_mul_f16_sdwa v134, v22, v7 dst_sel:DWORD dst_unused:UNUSED_PAD src0_sel:DWORD src1_sel:WORD_1
	v_fma_f16 v110, v110, v4, v128
	v_fma_f16 v18, v18, v5, -v129
	v_fma_f16 v111, v111, v5, v130
	v_fma_f16 v35, v35, v33, -v135
	;; [unrolled: 2-line block ×4, first 2 shown]
	v_mul_f16_sdwa v47, v47, v28 dst_sel:DWORD dst_unused:UNUSED_PAD src0_sel:DWORD src1_sel:WORD_1
	v_fma_f16 v20, v20, v6, -v131
	v_fma_f16 v112, v112, v6, v132
	v_fma_f16 v22, v22, v7, -v133
	v_fma_f16 v113, v113, v7, v134
	v_fma_f16 v47, v49, v28, v47
	v_add_f16_e32 v49, v16, v37
	v_add_f16_e32 v128, v110, v115
	v_sub_f16_e32 v16, v16, v37
	v_sub_f16_e32 v37, v110, v115
	v_add_f16_e32 v110, v18, v35
	v_add_f16_e32 v115, v111, v114
	v_sub_f16_e32 v18, v18, v35
	v_sub_f16_e32 v35, v111, v114
	;; [unrolled: 4-line block ×4, first 2 shown]
	v_sub_f16_e32 v49, v49, v111
	v_sub_f16_e32 v128, v128, v114
	v_sub_f16_e32 v110, v111, v110
	v_sub_f16_e32 v115, v114, v115
	v_add_f16_e32 v131, v20, v18
	v_add_f16_e32 v132, v22, v35
	v_sub_f16_e32 v133, v20, v18
	v_sub_f16_e32 v134, v22, v35
	;; [unrolled: 1-line block ×3, first 2 shown]
	v_add_f16_e32 v111, v111, v112
	v_add_f16_e32 v112, v114, v113
	v_sub_f16_e32 v20, v16, v20
	v_sub_f16_e32 v22, v37, v22
	;; [unrolled: 1-line block ×3, first 2 shown]
	v_add_f16_e32 v16, v131, v16
	v_add_f16_e32 v37, v132, v37
	;; [unrolled: 1-line block ×3, first 2 shown]
	v_add_f16_sdwa v14, v14, v112 dst_sel:DWORD dst_unused:UNUSED_PAD src0_sel:WORD_1 src1_sel:DWORD
	v_mul_f16_e32 v49, 0x3a52, v49
	v_mul_f16_e32 v113, 0x3a52, v128
	;; [unrolled: 1-line block ×7, first 2 shown]
	v_mul_f16_sdwa v139, v116, v8 dst_sel:DWORD dst_unused:UNUSED_PAD src0_sel:DWORD src1_sel:WORD_1
	v_mul_f16_sdwa v141, v119, v9 dst_sel:DWORD dst_unused:UNUSED_PAD src0_sel:DWORD src1_sel:WORD_1
	;; [unrolled: 1-line block ×4, first 2 shown]
	v_mul_f16_e32 v135, 0x3b00, v35
	v_fma_f16 v111, v111, s16, v131
	v_fma_f16 v112, v112, s16, v14
	;; [unrolled: 1-line block ×4, first 2 shown]
	v_fma_f16 v114, v129, s18, -v114
	v_fma_f16 v128, v130, s18, -v128
	;; [unrolled: 1-line block ×4, first 2 shown]
	v_fma_f16 v129, v20, s20, v132
	v_fma_f16 v18, v18, s15, -v132
	v_fma_f16 v35, v35, s15, -v133
	;; [unrolled: 1-line block ×3, first 2 shown]
	v_mul_f16_sdwa v140, v17, v8 dst_sel:DWORD dst_unused:UNUSED_PAD src0_sel:DWORD src1_sel:WORD_1
	v_mul_f16_sdwa v142, v19, v9 dst_sel:DWORD dst_unused:UNUSED_PAD src0_sel:DWORD src1_sel:WORD_1
	;; [unrolled: 1-line block ×8, first 2 shown]
	v_fma_f16 v17, v17, v8, -v139
	v_fma_f16 v19, v19, v9, -v141
	;; [unrolled: 1-line block ×4, first 2 shown]
	v_fma_f16 v130, v22, s20, v133
	v_fma_f16 v22, v22, s21, -v135
	v_add_f16_e32 v110, v110, v111
	v_add_f16_e32 v115, v115, v112
	;; [unrolled: 1-line block ×6, first 2 shown]
	v_fma_f16 v112, v16, s22, v129
	v_fma_f16 v18, v16, s22, v18
	;; [unrolled: 1-line block ×6, first 2 shown]
	v_fma_f16 v21, v21, v10, -v143
	v_fma_f16 v120, v120, v10, v144
	v_fma_f16 v23, v23, v11, -v145
	v_fma_f16 v124, v124, v11, v146
	v_fma_f16 v125, v125, v31, v148
	;; [unrolled: 1-line block ×5, first 2 shown]
	v_sub_f16_e32 v132, v111, v16
	v_sub_f16_e32 v133, v114, v35
	v_add_f16_e32 v135, v35, v114
	v_add_f16_e32 v16, v16, v111
	v_add_f16_e32 v35, v17, v38
	v_add_f16_e32 v111, v19, v36
	v_add_f16_e32 v22, v113, v110
	v_sub_f16_e32 v129, v115, v112
	v_add_f16_e32 v130, v20, v49
	v_sub_f16_e32 v20, v49, v20
	v_sub_f16_e32 v49, v110, v113
	v_add_f16_e32 v110, v112, v115
	v_add_f16_e32 v37, v116, v126
	v_sub_f16_e32 v17, v17, v38
	v_sub_f16_e32 v38, v116, v126
	v_add_f16_e32 v112, v119, v125
	v_sub_f16_e32 v19, v19, v36
	v_sub_f16_e32 v36, v119, v125
	v_add_f16_e32 v113, v21, v23
	v_add_f16_e32 v114, v120, v124
	v_sub_f16_e32 v21, v23, v21
	v_sub_f16_e32 v23, v124, v120
	v_add_f16_e32 v115, v111, v35
	v_add_f16_e32 v134, v18, v128
	v_sub_f16_e32 v18, v128, v18
	v_add_f16_e32 v116, v112, v37
	v_sub_f16_e32 v119, v111, v35
	v_sub_f16_e32 v120, v112, v37
	v_sub_f16_e32 v35, v35, v113
	v_sub_f16_e32 v37, v37, v114
	v_sub_f16_e32 v111, v113, v111
	v_sub_f16_e32 v112, v114, v112
	v_add_f16_e32 v124, v21, v19
	v_add_f16_e32 v125, v23, v36
	v_sub_f16_e32 v126, v21, v19
	v_sub_f16_e32 v128, v23, v36
	;; [unrolled: 1-line block ×4, first 2 shown]
	v_add_f16_e32 v113, v113, v115
	v_sub_f16_e32 v21, v17, v21
	v_sub_f16_e32 v23, v38, v23
	v_add_f16_e32 v114, v114, v116
	v_add_f16_e32 v17, v124, v17
	;; [unrolled: 1-line block ×4, first 2 shown]
	v_mul_f16_e32 v35, 0x3a52, v35
	v_mul_f16_e32 v37, 0x3a52, v37
	;; [unrolled: 1-line block ×8, first 2 shown]
	v_add_f16_sdwa v15, v15, v114 dst_sel:DWORD dst_unused:UNUSED_PAD src0_sel:WORD_1 src1_sel:DWORD
	v_fma_f16 v113, v113, s16, v124
	v_fma_f16 v111, v111, s14, v35
	;; [unrolled: 1-line block ×3, first 2 shown]
	v_fma_f16 v115, v119, s18, -v115
	v_fma_f16 v116, v120, s18, -v116
	;; [unrolled: 1-line block ×4, first 2 shown]
	v_fma_f16 v119, v21, s20, v125
	v_fma_f16 v120, v23, s20, v126
	v_fma_f16 v19, v19, s15, -v125
	v_fma_f16 v36, v36, s15, -v126
	;; [unrolled: 1-line block ×4, first 2 shown]
	v_fma_f16 v114, v114, s16, v15
	v_add_f16_e32 v111, v111, v113
	v_add_f16_e32 v115, v115, v113
	;; [unrolled: 1-line block ×3, first 2 shown]
	v_fma_f16 v113, v17, s22, v119
	v_fma_f16 v19, v17, s22, v19
	;; [unrolled: 1-line block ×5, first 2 shown]
	v_add_f16_e32 v112, v112, v114
	v_add_f16_e32 v116, v116, v114
	;; [unrolled: 1-line block ×3, first 2 shown]
	v_fma_f16 v114, v38, s22, v120
	v_add_f16_e32 v126, v21, v35
	v_sub_f16_e32 v136, v115, v36
	v_add_f16_e32 v138, v36, v115
	v_sub_f16_e32 v21, v35, v21
	v_add_f16_e32 v35, v127, v48
	v_add_f16_e32 v36, v13, v47
	v_sub_f16_e32 v13, v13, v47
	v_add_f16_e32 v38, v45, v51
	;; [unrolled: 3-line block ×3, first 2 shown]
	v_sub_f16_e32 v37, v127, v48
	v_sub_f16_e32 v45, v45, v51
	;; [unrolled: 1-line block ×3, first 2 shown]
	v_add_f16_e32 v41, v52, v50
	v_add_f16_e32 v48, v42, v39
	v_sub_f16_e32 v39, v39, v42
	v_add_f16_e32 v42, v38, v35
	v_add_f16_e32 v51, v47, v36
	v_add_f16_e32 v23, v114, v111
	v_sub_f16_e32 v125, v112, v113
	v_sub_f16_e32 v139, v111, v114
	v_add_f16_e32 v140, v113, v112
	v_sub_f16_e32 v50, v50, v52
	v_sub_f16_e32 v52, v38, v35
	;; [unrolled: 1-line block ×7, first 2 shown]
	v_add_f16_e32 v113, v39, v40
	v_sub_f16_e32 v115, v39, v40
	v_sub_f16_e32 v40, v40, v13
	v_add_f16_e32 v41, v41, v42
	v_add_f16_e32 v42, v48, v51
	;; [unrolled: 1-line block ×3, first 2 shown]
	v_sub_f16_e32 v114, v50, v45
	v_sub_f16_e32 v39, v13, v39
	;; [unrolled: 1-line block ×3, first 2 shown]
	v_add_f16_e32 v48, v113, v13
	v_add_f16_e32 v12, v12, v41
	;; [unrolled: 1-line block ×3, first 2 shown]
	v_mul_f16_e32 v35, 0x3a52, v35
	v_mul_f16_e32 v36, 0x3a52, v36
	;; [unrolled: 1-line block ×6, first 2 shown]
	v_sub_f16_e32 v50, v37, v50
	v_add_f16_e32 v37, v112, v37
	v_mul_f16_e32 v112, 0xb846, v114
	v_mul_f16_e32 v114, 0x3b00, v45
	v_fma_f16 v41, v41, s16, v12
	v_fma_f16 v38, v38, s14, v35
	v_fma_f16 v47, v47, s14, v36
	v_fma_f16 v46, v52, s18, -v46
	v_fma_f16 v51, v111, s18, -v51
	;; [unrolled: 1-line block ×4, first 2 shown]
	v_fma_f16 v111, v39, s20, v113
	v_fma_f16 v40, v40, s15, -v113
	v_fma_f16 v39, v39, s21, -v115
	v_fma_f16 v42, v42, s16, v13
	v_fma_f16 v52, v50, s20, v112
	v_fma_f16 v45, v45, s15, -v112
	v_fma_f16 v50, v50, s21, -v114
	v_add_f16_e32 v115, v38, v41
	v_add_f16_e32 v38, v46, v41
	;; [unrolled: 1-line block ×3, first 2 shown]
	v_fma_f16 v40, v48, s22, v40
	v_fma_f16 v39, v48, s22, v39
	v_add_f16_e32 v47, v47, v42
	v_add_f16_e32 v46, v51, v42
	;; [unrolled: 1-line block ×3, first 2 shown]
	v_fma_f16 v51, v37, s22, v52
	v_fma_f16 v45, v37, s22, v45
	;; [unrolled: 1-line block ×3, first 2 shown]
	v_add_f16_e32 v35, v39, v41
	v_sub_f16_e32 v36, v38, v40
	v_add_f16_e32 v37, v40, v38
	v_sub_f16_e32 v38, v41, v39
	v_mul_u32_u24_e32 v39, 0x150, v117
	v_add_lshl_u32 v117, v39, v118, 2
	v_pack_b32_f16 v14, v131, v14
	v_pack_b32_f16 v22, v22, v129
	ds_write2_b32 v117, v14, v22 offset1:48
	v_pack_b32_f16 v14, v130, v132
	v_pack_b32_f16 v22, v133, v134
	ds_write2_b32 v117, v14, v22 offset0:96 offset1:144
	v_pack_b32_f16 v14, v135, v18
	v_pack_b32_f16 v16, v20, v16
	ds_write2_b32 v117, v14, v16 offset0:192 offset1:240
	v_pack_b32_f16 v14, v49, v110
	ds_write_b32 v117, v14 offset:1152
	v_mul_u32_u24_e32 v14, 0x150, v121
	v_add_f16_e32 v137, v19, v116
	v_add_lshl_u32 v118, v14, v122, 2
	v_pack_b32_f16 v14, v124, v15
	v_pack_b32_f16 v15, v23, v125
	v_sub_f16_e32 v19, v116, v19
	ds_write2_b32 v118, v14, v15 offset1:48
	v_pack_b32_f16 v14, v126, v128
	v_pack_b32_f16 v15, v136, v137
	v_fma_f16 v52, v48, s22, v111
	ds_write2_b32 v118, v14, v15 offset0:96 offset1:144
	v_pack_b32_f16 v14, v138, v19
	v_pack_b32_f16 v15, v21, v17
	v_add_f16_e32 v119, v52, v115
	v_sub_f16_e32 v120, v47, v51
	v_sub_f16_e32 v111, v42, v50
	v_add_f16_e32 v113, v45, v46
	v_sub_f16_e32 v114, v46, v45
	v_add_f16_e32 v112, v50, v42
	;; [unrolled: 2-line block ×3, first 2 shown]
	ds_write2_b32 v118, v14, v15 offset0:192 offset1:240
	v_pack_b32_f16 v14, v139, v140
	v_lshlrev_b32_e32 v110, 2, v123
	ds_write_b32 v118, v14 offset:1152
	s_and_saveexec_b64 s[14:15], s[2:3]
	s_cbranch_execz .LBB0_23
; %bb.22:
	s_mov_b32 s16, 0x5040100
	v_perm_b32 v12, v13, v12, s16
	v_perm_b32 v13, v120, v119, s16
	v_add_u32_e32 v14, 0x1400, v110
	ds_write2_b32 v14, v12, v13 offset0:64 offset1:112
	v_perm_b32 v12, v111, v35, s16
	v_perm_b32 v13, v113, v36, s16
	ds_write2_b32 v14, v12, v13 offset0:160 offset1:208
	v_perm_b32 v12, v114, v37, s16
	v_perm_b32 v13, v112, v38, s16
	v_add_u32_e32 v14, 0x1800, v110
	ds_write2_b32 v14, v12, v13 offset1:48
	v_perm_b32 v12, v116, v115, s16
	ds_write_b32 v110, v12 offset:6528
.LBB0_23:
	s_or_b64 exec, exec, s[14:15]
	v_lshlrev_b32_e32 v12, 4, v66
	s_waitcnt lgkmcnt(0)
	s_barrier
	global_load_dwordx4 v[12:15], v12, s[4:5] offset:1336
	v_lshlrev_b32_e32 v20, 4, v43
	global_load_dwordx4 v[20:23], v20, s[4:5] offset:1336
	v_lshlrev_b32_e32 v16, 4, v44
	global_load_dwordx4 v[16:19], v16, s[4:5] offset:1336
	v_mov_b32_e32 v44, s17
	v_add_u32_e32 v41, 0x200, v53
	ds_read2_b32 v[39:40], v53 offset1:112
	v_add_u32_e32 v43, 0xa00, v53
	v_add_u32_e32 v50, 0xc00, v53
	;; [unrolled: 1-line block ×5, first 2 shown]
	ds_read_b32 v127, v53 offset:6272
	v_addc_co_u32_e64 v128, vcc, 0, v44, s[6:7]
	ds_read2_b32 v[44:45], v41 offset0:96 offset1:208
	ds_read2_b32 v[46:47], v43 offset0:32 offset1:144
	;; [unrolled: 1-line block ×6, first 2 shown]
	s_waitcnt lgkmcnt(4)
	v_lshrrev_b32_e32 v133, 16, v46
	s_waitcnt lgkmcnt(3)
	v_lshrrev_b32_e32 v134, 16, v49
	v_lshrrev_b32_e32 v132, 16, v45
	s_waitcnt lgkmcnt(2)
	v_lshrrev_b32_e32 v135, 16, v121
	s_waitcnt lgkmcnt(0)
	v_lshrrev_b32_e32 v143, 16, v126
	s_movk_i32 s5, 0x3b9c
	s_mov_b32 s14, 0xbb9c
	v_lshrrev_b32_e32 v131, 16, v127
	s_movk_i32 s6, 0x38b4
	s_mov_b32 s15, 0xb8b4
	s_movk_i32 s7, 0x34f2
	v_lshrrev_b32_e32 v129, 16, v39
	v_lshrrev_b32_e32 v137, 16, v47
	;; [unrolled: 1-line block ×9, first 2 shown]
	s_movk_i32 s4, 0x1000
	s_waitcnt vmcnt(2)
	v_mul_f16_sdwa v146, v133, v13 dst_sel:DWORD dst_unused:UNUSED_PAD src0_sel:DWORD src1_sel:WORD_1
	v_mul_f16_sdwa v148, v134, v14 dst_sel:DWORD dst_unused:UNUSED_PAD src0_sel:DWORD src1_sel:WORD_1
	;; [unrolled: 1-line block ×6, first 2 shown]
	v_fma_f16 v46, v46, v13, -v146
	v_fma_f16 v49, v49, v14, -v148
	v_mul_f16_sdwa v144, v132, v12 dst_sel:DWORD dst_unused:UNUSED_PAD src0_sel:DWORD src1_sel:WORD_1
	v_mul_f16_sdwa v150, v135, v15 dst_sel:DWORD dst_unused:UNUSED_PAD src0_sel:DWORD src1_sel:WORD_1
	v_fma_f16 v132, v132, v12, v145
	v_fma_f16 v135, v135, v15, v151
	v_add_f16_e32 v145, v46, v49
	s_waitcnt vmcnt(1)
	v_mul_f16_sdwa v164, v143, v22 dst_sel:DWORD dst_unused:UNUSED_PAD src0_sel:DWORD src1_sel:WORD_1
	v_fma_f16 v45, v45, v12, -v144
	v_fma_f16 v133, v133, v13, v147
	v_fma_f16 v134, v134, v14, v149
	v_fma_f16 v121, v121, v15, -v150
	v_fma_f16 v145, v145, -0.5, v39
	v_sub_f16_e32 v146, v132, v135
	v_fma_f16 v144, v126, v22, -v164
	v_mul_f16_sdwa v126, v126, v22 dst_sel:DWORD dst_unused:UNUSED_PAD src0_sel:DWORD src1_sel:WORD_1
	v_fma_f16 v147, v146, s5, v145
	v_sub_f16_e32 v148, v133, v134
	v_sub_f16_e32 v149, v45, v46
	;; [unrolled: 1-line block ×3, first 2 shown]
	v_fma_f16 v145, v146, s14, v145
	v_fma_f16 v126, v143, v22, v126
	v_mul_f16_sdwa v143, v131, v23 dst_sel:DWORD dst_unused:UNUSED_PAD src0_sel:DWORD src1_sel:WORD_1
	v_fma_f16 v147, v148, s6, v147
	v_add_f16_e32 v149, v149, v150
	v_fma_f16 v145, v148, s15, v145
	v_fma_f16 v143, v127, v23, -v143
	v_mul_f16_sdwa v127, v127, v23 dst_sel:DWORD dst_unused:UNUSED_PAD src0_sel:DWORD src1_sel:WORD_1
	v_fma_f16 v147, v149, s7, v147
	v_fma_f16 v145, v149, s7, v145
	v_add_f16_e32 v149, v45, v121
	v_fma_f16 v127, v131, v23, v127
	v_add_f16_e32 v131, v39, v45
	v_fma_f16 v39, v149, -0.5, v39
	v_add_f16_e32 v131, v131, v46
	v_fma_f16 v149, v148, s14, v39
	v_fma_f16 v39, v148, s5, v39
	v_add_f16_e32 v148, v133, v134
	v_add_f16_e32 v131, v131, v49
	v_sub_f16_e32 v150, v46, v45
	v_sub_f16_e32 v151, v49, v121
	v_fma_f16 v148, v148, -0.5, v129
	v_sub_f16_e32 v45, v45, v121
	v_add_f16_e32 v131, v131, v121
	v_fma_f16 v149, v146, s6, v149
	v_add_f16_e32 v150, v150, v151
	v_fma_f16 v39, v146, s15, v39
	v_fma_f16 v121, v45, s14, v148
	v_sub_f16_e32 v46, v46, v49
	v_fma_f16 v149, v150, s7, v149
	v_fma_f16 v39, v150, s7, v39
	;; [unrolled: 1-line block ×3, first 2 shown]
	v_sub_f16_e32 v121, v132, v133
	v_sub_f16_e32 v150, v135, v134
	v_fma_f16 v148, v45, s5, v148
	v_add_f16_e32 v121, v121, v150
	v_fma_f16 v148, v46, s6, v148
	v_fma_f16 v49, v121, s7, v49
	;; [unrolled: 1-line block ×3, first 2 shown]
	v_add_f16_e32 v121, v132, v135
	s_waitcnt vmcnt(0)
	v_mul_f16_sdwa v154, v137, v17 dst_sel:DWORD dst_unused:UNUSED_PAD src0_sel:DWORD src1_sel:WORD_1
	v_mul_f16_sdwa v156, v138, v18 dst_sel:DWORD dst_unused:UNUSED_PAD src0_sel:DWORD src1_sel:WORD_1
	v_add_f16_e32 v146, v129, v132
	v_fma_f16 v121, v121, -0.5, v129
	v_mul_f16_sdwa v153, v123, v16 dst_sel:DWORD dst_unused:UNUSED_PAD src0_sel:DWORD src1_sel:WORD_1
	v_mul_f16_sdwa v155, v47, v17 dst_sel:DWORD dst_unused:UNUSED_PAD src0_sel:DWORD src1_sel:WORD_1
	;; [unrolled: 1-line block ×4, first 2 shown]
	v_fma_f16 v47, v47, v17, -v154
	v_fma_f16 v125, v125, v18, -v156
	v_add_f16_e32 v146, v146, v133
	v_fma_f16 v129, v46, s5, v121
	v_sub_f16_e32 v132, v133, v132
	v_sub_f16_e32 v133, v134, v135
	v_fma_f16 v46, v46, s14, v121
	v_mul_f16_sdwa v152, v136, v16 dst_sel:DWORD dst_unused:UNUSED_PAD src0_sel:DWORD src1_sel:WORD_1
	v_mul_f16_sdwa v158, v139, v19 dst_sel:DWORD dst_unused:UNUSED_PAD src0_sel:DWORD src1_sel:WORD_1
	v_fma_f16 v136, v136, v16, v153
	v_fma_f16 v139, v139, v19, v159
	;; [unrolled: 1-line block ×3, first 2 shown]
	v_add_f16_e32 v132, v132, v133
	v_fma_f16 v45, v45, s6, v46
	v_add_f16_e32 v121, v47, v125
	v_fma_f16 v123, v123, v16, -v152
	v_fma_f16 v137, v137, v17, v155
	v_fma_f16 v138, v138, v18, v157
	v_fma_f16 v122, v122, v19, -v158
	v_add_f16_e32 v146, v146, v134
	v_fma_f16 v129, v132, s7, v129
	v_fma_f16 v45, v132, s7, v45
	v_fma_f16 v121, v121, -0.5, v40
	v_sub_f16_e32 v132, v136, v139
	v_add_f16_e32 v146, v146, v135
	v_fma_f16 v133, v132, s5, v121
	v_sub_f16_e32 v134, v137, v138
	v_sub_f16_e32 v135, v123, v47
	v_sub_f16_e32 v150, v122, v125
	v_fma_f16 v121, v132, s14, v121
	v_fma_f16 v133, v134, s6, v133
	v_add_f16_e32 v135, v135, v150
	v_fma_f16 v121, v134, s15, v121
	v_fma_f16 v133, v135, s7, v133
	;; [unrolled: 1-line block ×3, first 2 shown]
	v_add_f16_e32 v121, v123, v122
	v_add_f16_e32 v46, v40, v123
	v_fma_f16 v40, v121, -0.5, v40
	v_fma_f16 v121, v134, s14, v40
	v_sub_f16_e32 v150, v47, v123
	v_sub_f16_e32 v151, v125, v122
	v_fma_f16 v121, v132, s6, v121
	v_add_f16_e32 v150, v150, v151
	v_fma_f16 v151, v150, s7, v121
	v_add_f16_e32 v121, v130, v136
	v_add_f16_e32 v121, v121, v137
	;; [unrolled: 1-line block ×3, first 2 shown]
	v_fma_f16 v40, v134, s5, v40
	v_add_f16_e32 v121, v121, v138
	v_add_f16_e32 v46, v46, v125
	v_fma_f16 v40, v132, s15, v40
	v_add_f16_e32 v132, v121, v139
	v_add_f16_e32 v121, v137, v138
	;; [unrolled: 1-line block ×3, first 2 shown]
	v_fma_f16 v121, v121, -0.5, v130
	v_sub_f16_e32 v122, v123, v122
	v_fma_f16 v123, v122, s14, v121
	v_sub_f16_e32 v47, v47, v125
	v_sub_f16_e32 v125, v136, v137
	;; [unrolled: 1-line block ×3, first 2 shown]
	v_fma_f16 v121, v122, s5, v121
	v_fma_f16 v123, v47, s15, v123
	v_add_f16_e32 v125, v125, v134
	v_fma_f16 v121, v47, s6, v121
	v_mul_f16_sdwa v160, v141, v20 dst_sel:DWORD dst_unused:UNUSED_PAD src0_sel:DWORD src1_sel:WORD_1
	v_fma_f16 v123, v125, s7, v123
	v_fma_f16 v125, v125, s7, v121
	v_add_f16_e32 v121, v136, v139
	v_mul_f16_sdwa v161, v124, v20 dst_sel:DWORD dst_unused:UNUSED_PAD src0_sel:DWORD src1_sel:WORD_1
	v_mul_f16_sdwa v162, v142, v21 dst_sel:DWORD dst_unused:UNUSED_PAD src0_sel:DWORD src1_sel:WORD_1
	v_fma_f16 v124, v124, v20, -v160
	v_fma_f16 v121, v121, -0.5, v130
	v_mul_f16_sdwa v163, v48, v21 dst_sel:DWORD dst_unused:UNUSED_PAD src0_sel:DWORD src1_sel:WORD_1
	v_fma_f16 v48, v48, v21, -v162
	v_fma_f16 v130, v47, s5, v121
	v_fma_f16 v47, v47, s14, v121
	v_add_f16_e32 v121, v44, v124
	v_sub_f16_e32 v134, v137, v136
	v_sub_f16_e32 v136, v138, v139
	v_add_f16_e32 v121, v121, v48
	v_fma_f16 v130, v122, s15, v130
	v_add_f16_e32 v134, v134, v136
	v_fma_f16 v47, v122, s6, v47
	;; [unrolled: 2-line block ×3, first 2 shown]
	v_fma_f16 v130, v134, s7, v130
	v_fma_f16 v47, v134, s7, v47
	v_add_f16_e32 v134, v121, v143
	v_add_f16_e32 v121, v48, v144
	v_fma_f16 v142, v142, v21, v163
	v_fma_f16 v121, v121, -0.5, v44
	v_sub_f16_e32 v122, v141, v127
	v_fma_f16 v136, v122, s5, v121
	v_sub_f16_e32 v137, v142, v126
	v_sub_f16_e32 v138, v124, v48
	;; [unrolled: 1-line block ×3, first 2 shown]
	v_fma_f16 v121, v122, s14, v121
	v_fma_f16 v136, v137, s6, v136
	v_add_f16_e32 v138, v138, v139
	v_fma_f16 v121, v137, s15, v121
	v_fma_f16 v136, v138, s7, v136
	;; [unrolled: 1-line block ×3, first 2 shown]
	v_add_f16_e32 v138, v124, v143
	v_fma_f16 v44, v138, -0.5, v44
	v_fma_f16 v138, v137, s14, v44
	v_fma_f16 v44, v137, s5, v44
	;; [unrolled: 1-line block ×4, first 2 shown]
	v_add_f16_e32 v122, v140, v141
	v_add_f16_e32 v122, v122, v142
	v_add_f16_e32 v122, v122, v126
	v_fma_f16 v40, v150, s7, v40
	v_sub_f16_e32 v139, v48, v124
	v_sub_f16_e32 v150, v144, v143
	v_add_f16_e32 v137, v122, v127
	v_add_f16_e32 v122, v142, v126
	;; [unrolled: 1-line block ×3, first 2 shown]
	v_fma_f16 v122, v122, -0.5, v140
	v_sub_f16_e32 v124, v124, v143
	v_fma_f16 v138, v139, s7, v138
	v_fma_f16 v44, v139, s7, v44
	;; [unrolled: 1-line block ×3, first 2 shown]
	v_sub_f16_e32 v48, v48, v144
	v_sub_f16_e32 v143, v141, v142
	;; [unrolled: 1-line block ×3, first 2 shown]
	v_fma_f16 v122, v124, s5, v122
	v_fma_f16 v139, v48, s15, v139
	v_add_f16_e32 v143, v143, v144
	v_fma_f16 v122, v48, s6, v122
	v_fma_f16 v139, v143, s7, v139
	;; [unrolled: 1-line block ×3, first 2 shown]
	v_add_f16_e32 v143, v141, v127
	v_fma_f16 v140, v143, -0.5, v140
	v_pack_b32_f16 v39, v39, v45
	v_fma_f16 v143, v48, s5, v140
	v_fma_f16 v48, v48, s14, v140
	v_pack_b32_f16 v49, v147, v49
	ds_write_b32 v53, v39 offset:4032
	v_pack_b32_f16 v39, v145, v148
	v_fma_f16 v143, v124, s15, v143
	v_fma_f16 v48, v124, s6, v48
	v_pack_b32_f16 v124, v131, v146
	ds_write_b32 v53, v49 offset:1344
	v_pack_b32_f16 v49, v149, v129
	ds_write_b32 v53, v39 offset:5376
	v_pack_b32_f16 v39, v46, v132
	v_pack_b32_f16 v40, v40, v47
	v_sub_f16_e32 v141, v142, v141
	v_sub_f16_e32 v126, v126, v127
	ds_write_b32 v53, v49 offset:2688
	ds_write2_b32 v53, v124, v39 offset1:112
	ds_write_b32 v53, v40 offset:4480
	v_pack_b32_f16 v40, v135, v125
	v_add_f16_e32 v126, v141, v126
	ds_write_b32 v53, v40 offset:5824
	v_pack_b32_f16 v40, v134, v137
	v_fma_f16 v127, v126, s7, v143
	v_pack_b32_f16 v39, v133, v123
	v_pack_b32_f16 v45, v151, v130
	ds_write_b32 v53, v40 offset:896
	v_pack_b32_f16 v40, v136, v139
	v_fma_f16 v48, v126, s7, v48
	ds_write_b32 v53, v45 offset:3136
	ds_write2_b32 v42, v39, v40 offset0:64 offset1:176
	v_pack_b32_f16 v39, v138, v127
	ds_write_b32 v53, v39 offset:3584
	v_pack_b32_f16 v39, v44, v48
	ds_write_b32 v53, v39 offset:4928
	;; [unrolled: 2-line block ×3, first 2 shown]
	v_add_co_u32_e32 v39, vcc, s4, v24
	v_addc_co_u32_e32 v40, vcc, 0, v128, vcc
	s_waitcnt lgkmcnt(0)
	s_barrier
	global_load_dword v48, v[39:40], off offset:2624
	s_movk_i32 s4, 0x1a40
	v_add_co_u32_e32 v39, vcc, s4, v24
	v_addc_co_u32_e32 v40, vcc, 0, v128, vcc
	global_load_dword v49, v[39:40], off offset:3360
	global_load_dword v123, v[39:40], off offset:448
	;; [unrolled: 1-line block ×4, first 2 shown]
	s_movk_i32 s4, 0x2000
	v_add_co_u32_e32 v44, vcc, s4, v24
	v_addc_co_u32_e32 v45, vcc, 0, v128, vcc
	global_load_dword v126, v[44:45], off offset:2784
	global_load_dword v127, v[39:40], off offset:1344
	;; [unrolled: 1-line block ×4, first 2 shown]
	ds_read2_b32 v[46:47], v53 offset1:112
	global_load_dword v132, v[44:45], off offset:3680
	global_load_dword v133, v[39:40], off offset:2240
	s_movk_i32 s4, 0x3000
	v_add_co_u32_e32 v44, vcc, s4, v24
	v_addc_co_u32_e32 v45, vcc, 0, v128, vcc
	global_load_dword v128, v[44:45], off offset:32
	global_load_dword v134, v[44:45], off offset:480
	s_waitcnt lgkmcnt(0)
	v_lshrrev_b32_e32 v131, 16, v46
	s_waitcnt vmcnt(12)
	v_mul_f16_sdwa v45, v46, v48 dst_sel:DWORD dst_unused:UNUSED_PAD src0_sel:DWORD src1_sel:WORD_1
	v_mul_f16_sdwa v44, v131, v48 dst_sel:DWORD dst_unused:UNUSED_PAD src0_sel:DWORD src1_sel:WORD_1
	v_fma_f16 v45, v131, v48, v45
	global_load_dword v131, v[39:40], off offset:2688
	v_fma_f16 v44, v46, v48, -v44
	v_pack_b32_f16 v44, v44, v45
	ds_write_b32 v53, v44
	ds_read2_b32 v[45:46], v43 offset0:32 offset1:200
	s_waitcnt lgkmcnt(0)
	v_lshrrev_b32_e32 v44, 16, v46
	s_waitcnt vmcnt(12)
	v_mul_f16_sdwa v48, v44, v49 dst_sel:DWORD dst_unused:UNUSED_PAD src0_sel:DWORD src1_sel:WORD_1
	v_fma_f16 v48, v46, v49, -v48
	v_mul_f16_sdwa v46, v46, v49 dst_sel:DWORD dst_unused:UNUSED_PAD src0_sel:DWORD src1_sel:WORD_1
	v_fma_f16 v44, v44, v49, v46
	v_pack_b32_f16 v135, v48, v44
	v_add_u32_e32 v44, 0xe00, v53
	ds_read2_b32 v[48:49], v44 offset0:56 offset1:168
	v_lshrrev_b32_e32 v46, 16, v47
	s_waitcnt vmcnt(11)
	v_mul_f16_sdwa v136, v46, v123 dst_sel:DWORD dst_unused:UNUSED_PAD src0_sel:DWORD src1_sel:WORD_1
	v_fma_f16 v136, v47, v123, -v136
	v_mul_f16_sdwa v47, v47, v123 dst_sel:DWORD dst_unused:UNUSED_PAD src0_sel:DWORD src1_sel:WORD_1
	v_fma_f16 v46, v46, v123, v47
	v_pack_b32_f16 v123, v136, v46
	s_waitcnt lgkmcnt(0)
	v_lshrrev_b32_e32 v136, 16, v48
	s_waitcnt vmcnt(10)
	v_mul_f16_sdwa v46, v136, v124 dst_sel:DWORD dst_unused:UNUSED_PAD src0_sel:DWORD src1_sel:WORD_1
	v_fma_f16 v137, v48, v124, -v46
	ds_read2_b32 v[46:47], v41 offset0:96 offset1:208
	v_mul_f16_sdwa v48, v48, v124 dst_sel:DWORD dst_unused:UNUSED_PAD src0_sel:DWORD src1_sel:WORD_1
	v_fma_f16 v48, v136, v124, v48
	v_pack_b32_f16 v48, v137, v48
	ds_write2_b32 v50, v135, v48 offset0:72 offset1:184
	s_waitcnt lgkmcnt(1)
	v_lshrrev_b32_e32 v48, 16, v46
	s_waitcnt vmcnt(9)
	v_mul_f16_sdwa v50, v48, v125 dst_sel:DWORD dst_unused:UNUSED_PAD src0_sel:DWORD src1_sel:WORD_1
	v_fma_f16 v50, v46, v125, -v50
	v_mul_f16_sdwa v46, v46, v125 dst_sel:DWORD dst_unused:UNUSED_PAD src0_sel:DWORD src1_sel:WORD_1
	v_fma_f16 v46, v48, v125, v46
	v_pack_b32_f16 v46, v50, v46
	ds_write2_b32 v53, v123, v46 offset0:112 offset1:224
	v_lshrrev_b32_e32 v46, 16, v49
	s_waitcnt vmcnt(8)
	v_mul_f16_sdwa v48, v46, v126 dst_sel:DWORD dst_unused:UNUSED_PAD src0_sel:DWORD src1_sel:WORD_1
	v_fma_f16 v48, v49, v126, -v48
	v_mul_f16_sdwa v49, v49, v126 dst_sel:DWORD dst_unused:UNUSED_PAD src0_sel:DWORD src1_sel:WORD_1
	v_fma_f16 v46, v46, v126, v49
	v_add_u32_e32 v49, 0x1200, v53
	ds_read2_b32 v[123:124], v49 offset0:24 offset1:136
	v_pack_b32_f16 v48, v48, v46
	v_lshrrev_b32_e32 v46, 16, v47
	s_waitcnt vmcnt(7)
	v_mul_f16_sdwa v50, v46, v127 dst_sel:DWORD dst_unused:UNUSED_PAD src0_sel:DWORD src1_sel:WORD_1
	v_fma_f16 v50, v47, v127, -v50
	v_mul_f16_sdwa v47, v47, v127 dst_sel:DWORD dst_unused:UNUSED_PAD src0_sel:DWORD src1_sel:WORD_1
	v_fma_f16 v46, v46, v127, v47
	s_waitcnt lgkmcnt(0)
	v_lshrrev_b32_e32 v125, 16, v123
	v_pack_b32_f16 v50, v50, v46
	s_waitcnt vmcnt(6)
	v_mul_f16_sdwa v46, v125, v129 dst_sel:DWORD dst_unused:UNUSED_PAD src0_sel:DWORD src1_sel:WORD_1
	v_fma_f16 v126, v123, v129, -v46
	ds_read2_b32 v[46:47], v42 offset0:64 offset1:176
	v_mul_f16_sdwa v123, v123, v129 dst_sel:DWORD dst_unused:UNUSED_PAD src0_sel:DWORD src1_sel:WORD_1
	v_fma_f16 v123, v125, v129, v123
	v_pack_b32_f16 v123, v126, v123
	ds_write2_b32 v52, v48, v123 offset0:40 offset1:152
	s_waitcnt lgkmcnt(1)
	v_lshrrev_b32_e32 v48, 16, v46
	s_waitcnt vmcnt(5)
	v_mul_f16_sdwa v52, v48, v130 dst_sel:DWORD dst_unused:UNUSED_PAD src0_sel:DWORD src1_sel:WORD_1
	v_fma_f16 v52, v46, v130, -v52
	v_mul_f16_sdwa v46, v46, v130 dst_sel:DWORD dst_unused:UNUSED_PAD src0_sel:DWORD src1_sel:WORD_1
	v_fma_f16 v46, v48, v130, v46
	v_pack_b32_f16 v46, v52, v46
	v_add_u32_e32 v48, 0x400, v53
	ds_write2_b32 v48, v50, v46 offset0:80 offset1:192
	v_lshrrev_b32_e32 v46, 16, v124
	s_waitcnt vmcnt(4)
	v_mul_f16_sdwa v48, v46, v132 dst_sel:DWORD dst_unused:UNUSED_PAD src0_sel:DWORD src1_sel:WORD_1
	v_fma_f16 v48, v124, v132, -v48
	v_mul_f16_sdwa v50, v124, v132 dst_sel:DWORD dst_unused:UNUSED_PAD src0_sel:DWORD src1_sel:WORD_1
	ds_read2_b32 v[123:124], v51 offset0:120 offset1:232
	v_fma_f16 v46, v46, v132, v50
	v_pack_b32_f16 v46, v48, v46
	v_lshrrev_b32_e32 v48, 16, v47
	s_waitcnt vmcnt(3)
	v_mul_f16_sdwa v50, v48, v133 dst_sel:DWORD dst_unused:UNUSED_PAD src0_sel:DWORD src1_sel:WORD_1
	v_fma_f16 v50, v47, v133, -v50
	v_mul_f16_sdwa v47, v47, v133 dst_sel:DWORD dst_unused:UNUSED_PAD src0_sel:DWORD src1_sel:WORD_1
	v_fma_f16 v47, v48, v133, v47
	s_waitcnt lgkmcnt(0)
	v_lshrrev_b32_e32 v48, 16, v123
	v_pack_b32_f16 v47, v50, v47
	s_waitcnt vmcnt(2)
	v_mul_f16_sdwa v50, v48, v128 dst_sel:DWORD dst_unused:UNUSED_PAD src0_sel:DWORD src1_sel:WORD_1
	v_mul_f16_sdwa v52, v123, v128 dst_sel:DWORD dst_unused:UNUSED_PAD src0_sel:DWORD src1_sel:WORD_1
	v_fma_f16 v50, v123, v128, -v50
	v_fma_f16 v48, v48, v128, v52
	v_pack_b32_f16 v48, v50, v48
	ds_write2_b32 v51, v46, v48 offset0:8 offset1:120
	v_lshrrev_b32_e32 v46, 16, v45
	s_waitcnt vmcnt(0)
	v_mul_f16_sdwa v48, v46, v131 dst_sel:DWORD dst_unused:UNUSED_PAD src0_sel:DWORD src1_sel:WORD_1
	v_fma_f16 v48, v45, v131, -v48
	v_mul_f16_sdwa v45, v45, v131 dst_sel:DWORD dst_unused:UNUSED_PAD src0_sel:DWORD src1_sel:WORD_1
	v_fma_f16 v45, v46, v131, v45
	v_pack_b32_f16 v45, v48, v45
	v_add_u32_e32 v46, 0x800, v53
	ds_write2_b32 v46, v47, v45 offset0:48 offset1:160
	v_lshrrev_b32_e32 v45, 16, v124
	v_mul_f16_sdwa v46, v45, v134 dst_sel:DWORD dst_unused:UNUSED_PAD src0_sel:DWORD src1_sel:WORD_1
	v_mul_f16_sdwa v47, v124, v134 dst_sel:DWORD dst_unused:UNUSED_PAD src0_sel:DWORD src1_sel:WORD_1
	v_fma_f16 v46, v124, v134, -v46
	v_fma_f16 v45, v45, v134, v47
	v_pack_b32_f16 v45, v46, v45
	ds_write_b32 v53, v45 offset:6048
	s_and_saveexec_b64 s[4:5], s[0:1]
	s_cbranch_execz .LBB0_25
; %bb.24:
	global_load_dword v45, v[39:40], off offset:3136
	v_add_co_u32_e32 v39, vcc, 0x1000, v39
	v_addc_co_u32_e32 v40, vcc, 0, v40, vcc
	global_load_dword v39, v[39:40], off offset:2400
	ds_read_b32 v40, v53 offset:3136
	ds_read_b32 v46, v53 offset:6496
	s_waitcnt lgkmcnt(1)
	v_lshrrev_b32_e32 v47, 16, v40
	s_waitcnt lgkmcnt(0)
	v_lshrrev_b32_e32 v48, 16, v46
	s_waitcnt vmcnt(1)
	v_mul_f16_sdwa v50, v47, v45 dst_sel:DWORD dst_unused:UNUSED_PAD src0_sel:DWORD src1_sel:WORD_1
	v_mul_f16_sdwa v52, v40, v45 dst_sel:DWORD dst_unused:UNUSED_PAD src0_sel:DWORD src1_sel:WORD_1
	v_fma_f16 v40, v40, v45, -v50
	v_fma_f16 v45, v47, v45, v52
	v_pack_b32_f16 v40, v40, v45
	s_waitcnt vmcnt(0)
	v_mul_f16_sdwa v45, v48, v39 dst_sel:DWORD dst_unused:UNUSED_PAD src0_sel:DWORD src1_sel:WORD_1
	v_mul_f16_sdwa v47, v46, v39 dst_sel:DWORD dst_unused:UNUSED_PAD src0_sel:DWORD src1_sel:WORD_1
	ds_write_b32 v53, v40 offset:3136
	v_fma_f16 v40, v46, v39, -v45
	v_fma_f16 v39, v48, v39, v47
	v_pack_b32_f16 v39, v40, v39
	ds_write_b32 v53, v39 offset:6496
.LBB0_25:
	s_or_b64 exec, exec, s[4:5]
	s_waitcnt lgkmcnt(0)
	s_barrier
	ds_read2_b32 v[45:46], v53 offset1:112
	ds_read2_b32 v[39:40], v43 offset0:32 offset1:200
	ds_read2_b32 v[47:48], v44 offset0:56 offset1:168
	;; [unrolled: 1-line block ×6, first 2 shown]
	v_lshlrev_b32_e32 v124, 2, v78
	v_lshlrev_b32_e32 v123, 2, v79
	s_and_saveexec_b64 s[4:5], s[0:1]
	s_cbranch_execz .LBB0_27
; %bb.26:
	ds_read_b32 v121, v53 offset:3136
	ds_read_b32 v119, v53 offset:6496
	s_waitcnt lgkmcnt(1)
	v_lshrrev_b32_e32 v122, 16, v121
	s_waitcnt lgkmcnt(0)
	v_lshrrev_b32_e32 v120, 16, v119
.LBB0_27:
	s_or_b64 exec, exec, s[4:5]
	s_waitcnt lgkmcnt(5)
	v_pk_add_f16 v126, v45, v40 neg_lo:[0,1] neg_hi:[0,1]
	s_waitcnt lgkmcnt(4)
	v_pk_add_f16 v47, v46, v47 neg_lo:[0,1] neg_hi:[0,1]
	;; [unrolled: 2-line block ×3, first 2 shown]
	v_pk_fma_f16 v125, v45, 2.0, v126 op_sel_hi:[1,0,1] neg_lo:[0,0,1] neg_hi:[0,0,1]
	v_pk_fma_f16 v46, v46, 2.0, v47 op_sel_hi:[1,0,1] neg_lo:[0,0,1] neg_hi:[0,0,1]
	s_waitcnt lgkmcnt(2)
	v_pk_add_f16 v49, v44, v49 neg_lo:[0,1] neg_hi:[0,1]
	s_waitcnt lgkmcnt(0)
	s_barrier
	ds_write_b64 v72, v[125:126]
	ds_write_b64 v73, v[46:47]
	v_pk_fma_f16 v47, v43, 2.0, v48 op_sel_hi:[1,0,1] neg_lo:[0,0,1] neg_hi:[0,0,1]
	v_pk_add_f16 v50, v41, v50 neg_lo:[0,1] neg_hi:[0,1]
	ds_write_b64 v74, v[47:48]
	v_pk_fma_f16 v48, v44, 2.0, v49 op_sel_hi:[1,0,1] neg_lo:[0,0,1] neg_hi:[0,0,1]
	v_pk_add_f16 v51, v42, v51 neg_lo:[0,1] neg_hi:[0,1]
	v_pk_add_f16 v40, v39, v52 neg_lo:[0,1] neg_hi:[0,1]
	v_sub_f16_e32 v119, v121, v119
	v_sub_f16_e32 v120, v122, v120
	ds_write_b64 v76, v[48:49]
	v_pk_fma_f16 v49, v41, 2.0, v50 op_sel_hi:[1,0,1] neg_lo:[0,0,1] neg_hi:[0,0,1]
	v_fma_f16 v78, v121, 2.0, -v119
	v_fma_f16 v79, v122, 2.0, -v120
	ds_write_b64 v77, v[49:50]
	v_pk_fma_f16 v50, v42, 2.0, v51 op_sel_hi:[1,0,1] neg_lo:[0,0,1] neg_hi:[0,0,1]
	v_pk_fma_f16 v39, v39, 2.0, v40 op_sel_hi:[1,0,1] neg_lo:[0,0,1] neg_hi:[0,0,1]
	ds_write_b64 v124, v[50:51]
	ds_write_b64 v123, v[39:40]
	s_and_saveexec_b64 s[4:5], s[0:1]
	s_cbranch_execz .LBB0_29
; %bb.28:
	s_mov_b32 s6, 0x5040100
	v_perm_b32 v40, v120, v119, s6
	v_perm_b32 v39, v79, v78, s6
	ds_write_b64 v75, v[39:40]
.LBB0_29:
	s_or_b64 exec, exec, s[4:5]
	v_add_u32_e32 v41, 0xe00, v53
	s_waitcnt lgkmcnt(0)
	s_barrier
	ds_read2_b32 v[51:52], v41 offset0:56 offset1:168
	v_add_u32_e32 v41, 0x200, v53
	ds_read2_b32 v[45:46], v41 offset0:96 offset1:208
	v_add_u32_e32 v41, 0x1200, v53
	v_add_u32_e32 v39, 0xa00, v53
	ds_read2_b32 v[49:50], v41 offset0:24 offset1:136
	v_add_u32_e32 v41, 0x600, v53
	v_add_u32_e32 v47, 0x1400, v53
	ds_read2_b32 v[43:44], v53 offset1:112
	ds_read2_b32 v[39:40], v39 offset0:32 offset1:200
	ds_read2_b32 v[41:42], v41 offset0:64 offset1:176
	;; [unrolled: 1-line block ×3, first 2 shown]
	s_and_saveexec_b64 s[4:5], s[0:1]
	s_cbranch_execz .LBB0_31
; %bb.30:
	ds_read_b32 v78, v53 offset:3136
	ds_read_b32 v119, v53 offset:6496
	s_waitcnt lgkmcnt(1)
	v_lshrrev_b32_e32 v79, 16, v78
	s_waitcnt lgkmcnt(0)
	v_lshrrev_b32_e32 v120, 16, v119
.LBB0_31:
	s_or_b64 exec, exec, s[4:5]
	s_waitcnt lgkmcnt(2)
	v_lshrrev_b32_e32 v73, 16, v40
	v_mul_f16_sdwa v129, v71, v73 dst_sel:DWORD dst_unused:UNUSED_PAD src0_sel:WORD_1 src1_sel:DWORD
	v_lshrrev_b32_e32 v75, 16, v51
	v_fma_f16 v129, v71, v40, v129
	v_mul_f16_sdwa v40, v71, v40 dst_sel:DWORD dst_unused:UNUSED_PAD src0_sel:WORD_1 src1_sel:DWORD
	v_fma_f16 v40, v71, v73, -v40
	v_mul_f16_sdwa v73, v71, v75 dst_sel:DWORD dst_unused:UNUSED_PAD src0_sel:WORD_1 src1_sel:DWORD
	v_lshrrev_b32_e32 v77, 16, v52
	v_fma_f16 v73, v71, v51, v73
	v_mul_f16_sdwa v51, v71, v51 dst_sel:DWORD dst_unused:UNUSED_PAD src0_sel:WORD_1 src1_sel:DWORD
	v_fma_f16 v51, v71, v75, -v51
	;; [unrolled: 5-line block ×4, first 2 shown]
	v_mul_f16_sdwa v122, v71, v124 dst_sel:DWORD dst_unused:UNUSED_PAD src0_sel:WORD_1 src1_sel:DWORD
	s_waitcnt lgkmcnt(0)
	v_lshrrev_b32_e32 v126, 16, v47
	v_fma_f16 v122, v71, v50, v122
	v_mul_f16_sdwa v50, v71, v50 dst_sel:DWORD dst_unused:UNUSED_PAD src0_sel:WORD_1 src1_sel:DWORD
	v_fma_f16 v50, v71, v124, -v50
	v_mul_f16_sdwa v124, v71, v126 dst_sel:DWORD dst_unused:UNUSED_PAD src0_sel:WORD_1 src1_sel:DWORD
	v_lshrrev_b32_e32 v128, 16, v48
	v_fma_f16 v124, v71, v47, v124
	v_mul_f16_sdwa v47, v71, v47 dst_sel:DWORD dst_unused:UNUSED_PAD src0_sel:WORD_1 src1_sel:DWORD
	v_fma_f16 v47, v71, v126, -v47
	v_mul_f16_sdwa v126, v71, v128 dst_sel:DWORD dst_unused:UNUSED_PAD src0_sel:WORD_1 src1_sel:DWORD
	v_fma_f16 v126, v71, v48, v126
	v_mul_f16_sdwa v48, v71, v48 dst_sel:DWORD dst_unused:UNUSED_PAD src0_sel:WORD_1 src1_sel:DWORD
	v_fma_f16 v48, v71, v128, -v48
	v_mul_f16_sdwa v128, v71, v120 dst_sel:DWORD dst_unused:UNUSED_PAD src0_sel:WORD_1 src1_sel:DWORD
	v_lshrrev_b32_e32 v72, 16, v43
	v_fma_f16 v128, v71, v119, v128
	v_mul_f16_sdwa v119, v71, v119 dst_sel:DWORD dst_unused:UNUSED_PAD src0_sel:WORD_1 src1_sel:DWORD
	v_lshrrev_b32_e32 v74, 16, v44
	v_fma_f16 v71, v71, v120, -v119
	v_sub_f16_e32 v119, v43, v129
	v_sub_f16_e32 v40, v72, v40
	v_lshrrev_b32_e32 v76, 16, v45
	v_fma_f16 v43, v43, 2.0, -v119
	v_fma_f16 v120, v72, 2.0, -v40
	v_sub_f16_e32 v129, v44, v73
	v_sub_f16_e32 v51, v74, v51
	v_lshrrev_b32_e32 v121, 16, v46
	v_fma_f16 v44, v44, 2.0, -v129
	v_fma_f16 v130, v74, 2.0, -v51
	v_sub_f16_e32 v75, v45, v75
	v_sub_f16_e32 v52, v76, v52
	v_pack_b32_f16 v43, v43, v120
	v_pack_b32_f16 v40, v119, v40
	v_lshrrev_b32_e32 v123, 16, v41
	v_fma_f16 v45, v45, 2.0, -v75
	v_fma_f16 v76, v76, 2.0, -v52
	v_sub_f16_e32 v77, v46, v77
	v_sub_f16_e32 v49, v121, v49
	s_barrier
	ds_write2_b32 v81, v43, v40 offset1:2
	v_pack_b32_f16 v40, v44, v130
	v_pack_b32_f16 v43, v129, v51
	v_lshrrev_b32_e32 v125, 16, v42
	v_fma_f16 v46, v46, 2.0, -v77
	v_fma_f16 v121, v121, 2.0, -v49
	v_sub_f16_e32 v122, v41, v122
	v_sub_f16_e32 v50, v123, v50
	ds_write2_b32 v82, v40, v43 offset1:2
	v_pack_b32_f16 v40, v45, v76
	v_pack_b32_f16 v43, v75, v52
	v_lshrrev_b32_e32 v127, 16, v39
	v_fma_f16 v41, v41, 2.0, -v122
	v_fma_f16 v123, v123, 2.0, -v50
	v_sub_f16_e32 v124, v42, v124
	v_sub_f16_e32 v47, v125, v47
	ds_write2_b32 v84, v40, v43 offset1:2
	v_pack_b32_f16 v40, v46, v121
	v_pack_b32_f16 v43, v77, v49
	v_fma_f16 v42, v42, 2.0, -v124
	v_fma_f16 v125, v125, 2.0, -v47
	v_sub_f16_e32 v126, v39, v126
	v_sub_f16_e32 v48, v127, v48
	ds_write2_b32 v85, v40, v43 offset1:2
	v_pack_b32_f16 v40, v41, v123
	v_pack_b32_f16 v41, v122, v50
	;; [unrolled: 7-line block ×3, first 2 shown]
	v_fma_f16 v71, v78, 2.0, -v73
	v_fma_f16 v72, v79, 2.0, -v74
	ds_write2_b32 v87, v40, v41 offset1:2
	v_pack_b32_f16 v39, v39, v127
	v_pack_b32_f16 v40, v126, v48
	ds_write2_b32 v88, v39, v40 offset1:2
	s_and_saveexec_b64 s[4:5], s[0:1]
	s_cbranch_execz .LBB0_33
; %bb.32:
	s_movk_i32 s6, 0x6fc
	v_and_or_b32 v39, v69, s6, v70
	s_mov_b32 s6, 0x5040100
	v_lshlrev_b32_e32 v39, 2, v39
	v_perm_b32 v40, v72, v71, s6
	v_perm_b32 v41, v74, v73, s6
	ds_write2_b32 v39, v40, v41 offset1:2
.LBB0_33:
	s_or_b64 exec, exec, s[4:5]
	v_add_u32_e32 v41, 0xe00, v53
	s_waitcnt lgkmcnt(0)
	s_barrier
	ds_read2_b32 v[51:52], v41 offset0:56 offset1:168
	v_add_u32_e32 v41, 0x200, v53
	ds_read2_b32 v[45:46], v41 offset0:96 offset1:208
	v_add_u32_e32 v41, 0x1200, v53
	v_add_u32_e32 v39, 0xa00, v53
	ds_read2_b32 v[49:50], v41 offset0:24 offset1:136
	v_add_u32_e32 v41, 0x600, v53
	v_add_u32_e32 v47, 0x1400, v53
	ds_read2_b32 v[43:44], v53 offset1:112
	ds_read2_b32 v[39:40], v39 offset0:32 offset1:200
	ds_read2_b32 v[41:42], v41 offset0:64 offset1:176
	ds_read2_b32 v[47:48], v47 offset0:120 offset1:232
	s_and_saveexec_b64 s[4:5], s[0:1]
	s_cbranch_execz .LBB0_35
; %bb.34:
	ds_read_b32 v71, v53 offset:3136
	ds_read_b32 v73, v53 offset:6496
	s_waitcnt lgkmcnt(1)
	v_lshrrev_b32_e32 v72, 16, v71
	s_waitcnt lgkmcnt(0)
	v_lshrrev_b32_e32 v74, 16, v73
.LBB0_35:
	s_or_b64 exec, exec, s[4:5]
	s_waitcnt lgkmcnt(2)
	v_lshrrev_b32_e32 v75, 16, v40
	v_mul_f16_sdwa v120, v83, v75 dst_sel:DWORD dst_unused:UNUSED_PAD src0_sel:WORD_1 src1_sel:DWORD
	v_lshrrev_b32_e32 v77, 16, v51
	v_fma_f16 v120, v83, v40, v120
	v_mul_f16_sdwa v40, v83, v40 dst_sel:DWORD dst_unused:UNUSED_PAD src0_sel:WORD_1 src1_sel:DWORD
	v_fma_f16 v40, v83, v75, -v40
	v_mul_f16_sdwa v75, v83, v77 dst_sel:DWORD dst_unused:UNUSED_PAD src0_sel:WORD_1 src1_sel:DWORD
	v_lshrrev_b32_e32 v79, 16, v52
	v_fma_f16 v75, v83, v51, v75
	v_mul_f16_sdwa v51, v83, v51 dst_sel:DWORD dst_unused:UNUSED_PAD src0_sel:WORD_1 src1_sel:DWORD
	v_fma_f16 v51, v83, v77, -v51
	;; [unrolled: 5-line block ×4, first 2 shown]
	v_mul_f16_sdwa v82, v83, v85 dst_sel:DWORD dst_unused:UNUSED_PAD src0_sel:WORD_1 src1_sel:DWORD
	s_waitcnt lgkmcnt(0)
	v_lshrrev_b32_e32 v87, 16, v47
	v_fma_f16 v82, v83, v50, v82
	v_mul_f16_sdwa v50, v83, v50 dst_sel:DWORD dst_unused:UNUSED_PAD src0_sel:WORD_1 src1_sel:DWORD
	v_fma_f16 v50, v83, v85, -v50
	v_mul_f16_sdwa v85, v83, v87 dst_sel:DWORD dst_unused:UNUSED_PAD src0_sel:WORD_1 src1_sel:DWORD
	v_lshrrev_b32_e32 v119, 16, v48
	v_fma_f16 v85, v83, v47, v85
	v_mul_f16_sdwa v47, v83, v47 dst_sel:DWORD dst_unused:UNUSED_PAD src0_sel:WORD_1 src1_sel:DWORD
	v_fma_f16 v47, v83, v87, -v47
	v_mul_f16_sdwa v87, v83, v119 dst_sel:DWORD dst_unused:UNUSED_PAD src0_sel:WORD_1 src1_sel:DWORD
	v_fma_f16 v87, v83, v48, v87
	v_mul_f16_sdwa v48, v83, v48 dst_sel:DWORD dst_unused:UNUSED_PAD src0_sel:WORD_1 src1_sel:DWORD
	v_fma_f16 v48, v83, v119, -v48
	v_mul_f16_sdwa v119, v83, v74 dst_sel:DWORD dst_unused:UNUSED_PAD src0_sel:WORD_1 src1_sel:DWORD
	v_lshrrev_b32_e32 v70, 16, v43
	v_fma_f16 v119, v83, v73, v119
	v_mul_f16_sdwa v73, v83, v73 dst_sel:DWORD dst_unused:UNUSED_PAD src0_sel:WORD_1 src1_sel:DWORD
	v_lshrrev_b32_e32 v76, 16, v44
	v_fma_f16 v73, v83, v74, -v73
	v_sub_f16_e32 v74, v43, v120
	v_sub_f16_e32 v40, v70, v40
	v_lshrrev_b32_e32 v78, 16, v45
	v_fma_f16 v43, v43, 2.0, -v74
	v_fma_f16 v83, v70, 2.0, -v40
	v_sub_f16_e32 v75, v44, v75
	v_sub_f16_e32 v51, v76, v51
	v_lshrrev_b32_e32 v81, 16, v46
	v_fma_f16 v44, v44, 2.0, -v75
	v_fma_f16 v76, v76, 2.0, -v51
	v_sub_f16_e32 v77, v45, v77
	v_sub_f16_e32 v52, v78, v52
	v_pack_b32_f16 v43, v43, v83
	v_pack_b32_f16 v40, v74, v40
	v_lshrrev_b32_e32 v84, 16, v41
	v_fma_f16 v45, v45, 2.0, -v77
	v_fma_f16 v78, v78, 2.0, -v52
	v_sub_f16_e32 v79, v46, v79
	v_sub_f16_e32 v49, v81, v49
	s_barrier
	ds_write2_b32 v91, v43, v40 offset1:4
	v_pack_b32_f16 v40, v44, v76
	v_pack_b32_f16 v43, v75, v51
	v_lshrrev_b32_e32 v86, 16, v42
	v_fma_f16 v46, v46, 2.0, -v79
	v_fma_f16 v81, v81, 2.0, -v49
	v_sub_f16_e32 v82, v41, v82
	v_sub_f16_e32 v50, v84, v50
	ds_write2_b32 v92, v40, v43 offset1:4
	v_pack_b32_f16 v40, v45, v78
	v_pack_b32_f16 v43, v77, v52
	v_lshrrev_b32_e32 v88, 16, v39
	v_fma_f16 v41, v41, 2.0, -v82
	v_fma_f16 v84, v84, 2.0, -v50
	v_sub_f16_e32 v85, v42, v85
	v_sub_f16_e32 v47, v86, v47
	ds_write2_b32 v93, v40, v43 offset1:4
	v_pack_b32_f16 v40, v46, v81
	v_pack_b32_f16 v43, v79, v49
	v_fma_f16 v42, v42, 2.0, -v85
	v_fma_f16 v86, v86, 2.0, -v47
	v_sub_f16_e32 v87, v39, v87
	v_sub_f16_e32 v48, v88, v48
	ds_write2_b32 v94, v40, v43 offset1:4
	v_pack_b32_f16 v40, v41, v84
	v_pack_b32_f16 v41, v82, v50
	;; [unrolled: 7-line block ×3, first 2 shown]
	v_fma_f16 v71, v71, 2.0, -v70
	v_fma_f16 v72, v72, 2.0, -v73
	ds_write2_b32 v96, v40, v41 offset1:4
	v_pack_b32_f16 v39, v39, v88
	v_pack_b32_f16 v40, v87, v48
	ds_write2_b32 v97, v39, v40 offset1:4
	s_and_saveexec_b64 s[4:5], s[0:1]
	s_cbranch_execz .LBB0_37
; %bb.36:
	s_movk_i32 s6, 0x6f8
	v_and_or_b32 v39, v69, s6, v80
	s_mov_b32 s6, 0x5040100
	v_lshlrev_b32_e32 v39, 2, v39
	v_perm_b32 v40, v72, v71, s6
	v_perm_b32 v41, v73, v70, s6
	ds_write2_b32 v39, v40, v41 offset1:4
.LBB0_37:
	s_or_b64 exec, exec, s[4:5]
	v_add_u32_e32 v41, 0xe00, v53
	s_waitcnt lgkmcnt(0)
	s_barrier
	ds_read2_b32 v[51:52], v41 offset0:56 offset1:168
	v_add_u32_e32 v41, 0x200, v53
	ds_read2_b32 v[45:46], v41 offset0:96 offset1:208
	v_add_u32_e32 v41, 0x1200, v53
	v_add_u32_e32 v39, 0xa00, v53
	ds_read2_b32 v[49:50], v41 offset0:24 offset1:136
	v_add_u32_e32 v41, 0x600, v53
	v_add_u32_e32 v47, 0x1400, v53
	ds_read2_b32 v[43:44], v53 offset1:112
	ds_read2_b32 v[39:40], v39 offset0:32 offset1:200
	ds_read2_b32 v[41:42], v41 offset0:64 offset1:176
	;; [unrolled: 1-line block ×3, first 2 shown]
	s_and_saveexec_b64 s[4:5], s[0:1]
	s_cbranch_execz .LBB0_39
; %bb.38:
	ds_read_b32 v71, v53 offset:3136
	ds_read_b32 v70, v53 offset:6496
	s_waitcnt lgkmcnt(1)
	v_lshrrev_b32_e32 v72, 16, v71
	s_waitcnt lgkmcnt(0)
	v_lshrrev_b32_e32 v73, 16, v70
.LBB0_39:
	s_or_b64 exec, exec, s[4:5]
	s_waitcnt lgkmcnt(2)
	v_lshrrev_b32_e32 v75, 16, v40
	v_mul_f16_sdwa v88, v90, v75 dst_sel:DWORD dst_unused:UNUSED_PAD src0_sel:WORD_1 src1_sel:DWORD
	v_lshrrev_b32_e32 v77, 16, v51
	v_fma_f16 v88, v90, v40, v88
	v_mul_f16_sdwa v40, v90, v40 dst_sel:DWORD dst_unused:UNUSED_PAD src0_sel:WORD_1 src1_sel:DWORD
	v_fma_f16 v40, v90, v75, -v40
	v_mul_f16_sdwa v75, v90, v77 dst_sel:DWORD dst_unused:UNUSED_PAD src0_sel:WORD_1 src1_sel:DWORD
	v_lshrrev_b32_e32 v79, 16, v52
	v_fma_f16 v75, v90, v51, v75
	v_mul_f16_sdwa v51, v90, v51 dst_sel:DWORD dst_unused:UNUSED_PAD src0_sel:WORD_1 src1_sel:DWORD
	v_fma_f16 v51, v90, v77, -v51
	;; [unrolled: 5-line block ×4, first 2 shown]
	v_mul_f16_sdwa v81, v90, v83 dst_sel:DWORD dst_unused:UNUSED_PAD src0_sel:WORD_1 src1_sel:DWORD
	s_waitcnt lgkmcnt(0)
	v_lshrrev_b32_e32 v85, 16, v47
	v_fma_f16 v81, v90, v50, v81
	v_mul_f16_sdwa v50, v90, v50 dst_sel:DWORD dst_unused:UNUSED_PAD src0_sel:WORD_1 src1_sel:DWORD
	v_fma_f16 v50, v90, v83, -v50
	v_mul_f16_sdwa v83, v90, v85 dst_sel:DWORD dst_unused:UNUSED_PAD src0_sel:WORD_1 src1_sel:DWORD
	v_lshrrev_b32_e32 v87, 16, v48
	v_fma_f16 v83, v90, v47, v83
	v_mul_f16_sdwa v47, v90, v47 dst_sel:DWORD dst_unused:UNUSED_PAD src0_sel:WORD_1 src1_sel:DWORD
	v_fma_f16 v47, v90, v85, -v47
	v_mul_f16_sdwa v85, v90, v87 dst_sel:DWORD dst_unused:UNUSED_PAD src0_sel:WORD_1 src1_sel:DWORD
	v_fma_f16 v85, v90, v48, v85
	v_mul_f16_sdwa v48, v90, v48 dst_sel:DWORD dst_unused:UNUSED_PAD src0_sel:WORD_1 src1_sel:DWORD
	v_fma_f16 v48, v90, v87, -v48
	v_mul_f16_sdwa v87, v90, v73 dst_sel:DWORD dst_unused:UNUSED_PAD src0_sel:WORD_1 src1_sel:DWORD
	v_lshrrev_b32_e32 v74, 16, v43
	v_fma_f16 v87, v90, v70, v87
	v_mul_f16_sdwa v70, v90, v70 dst_sel:DWORD dst_unused:UNUSED_PAD src0_sel:WORD_1 src1_sel:DWORD
	v_lshrrev_b32_e32 v76, 16, v44
	v_fma_f16 v70, v90, v73, -v70
	v_sub_f16_e32 v73, v43, v88
	v_sub_f16_e32 v88, v74, v40
	v_lshrrev_b32_e32 v78, 16, v45
	v_fma_f16 v43, v43, 2.0, -v73
	v_fma_f16 v74, v74, 2.0, -v88
	v_sub_f16_e32 v75, v44, v75
	v_sub_f16_e32 v51, v76, v51
	v_lshrrev_b32_e32 v80, 16, v46
	v_fma_f16 v44, v44, 2.0, -v75
	v_fma_f16 v76, v76, 2.0, -v51
	v_sub_f16_e32 v77, v45, v77
	v_sub_f16_e32 v52, v78, v52
	v_pack_b32_f16 v43, v43, v74
	v_pack_b32_f16 v73, v73, v88
	v_lshrrev_b32_e32 v82, 16, v41
	v_fma_f16 v45, v45, 2.0, -v77
	v_fma_f16 v78, v78, 2.0, -v52
	v_sub_f16_e32 v79, v46, v79
	v_sub_f16_e32 v49, v80, v49
	s_barrier
	ds_write2_b32 v98, v43, v73 offset1:8
	v_pack_b32_f16 v43, v44, v76
	v_pack_b32_f16 v44, v75, v51
	v_lshrrev_b32_e32 v84, 16, v42
	v_fma_f16 v46, v46, 2.0, -v79
	v_fma_f16 v80, v80, 2.0, -v49
	v_sub_f16_e32 v81, v41, v81
	v_sub_f16_e32 v50, v82, v50
	ds_write2_b32 v99, v43, v44 offset1:8
	v_pack_b32_f16 v43, v45, v78
	v_pack_b32_f16 v44, v77, v52
	v_lshrrev_b32_e32 v86, 16, v39
	v_fma_f16 v41, v41, 2.0, -v81
	v_fma_f16 v82, v82, 2.0, -v50
	v_sub_f16_e32 v83, v42, v83
	v_sub_f16_e32 v47, v84, v47
	ds_write2_b32 v100, v43, v44 offset1:8
	v_pack_b32_f16 v43, v46, v80
	v_pack_b32_f16 v44, v79, v49
	v_fma_f16 v42, v42, 2.0, -v83
	v_fma_f16 v84, v84, 2.0, -v47
	v_sub_f16_e32 v85, v39, v85
	v_sub_f16_e32 v48, v86, v48
	ds_write2_b32 v101, v43, v44 offset1:8
	v_pack_b32_f16 v41, v41, v82
	v_pack_b32_f16 v43, v81, v50
	v_fma_f16 v39, v39, 2.0, -v85
	v_fma_f16 v86, v86, 2.0, -v48
	ds_write2_b32 v102, v41, v43 offset1:8
	v_pack_b32_f16 v41, v42, v84
	v_pack_b32_f16 v42, v83, v47
	v_sub_f16_e32 v40, v71, v87
	v_sub_f16_e32 v70, v72, v70
	ds_write2_b32 v103, v41, v42 offset1:8
	v_pack_b32_f16 v39, v39, v86
	v_pack_b32_f16 v41, v85, v48
	ds_write2_b32 v104, v39, v41 offset1:8
	s_and_saveexec_b64 s[4:5], s[0:1]
	s_cbranch_execz .LBB0_41
; %bb.40:
	s_movk_i32 s6, 0x6f0
	v_fma_f16 v39, v71, 2.0, -v40
	v_fma_f16 v41, v72, 2.0, -v70
	v_and_or_b32 v42, v69, s6, v89
	s_mov_b32 s6, 0x5040100
	v_lshlrev_b32_e32 v42, 2, v42
	v_pack_b32_f16 v39, v39, v41
	v_perm_b32 v41, v70, v40, s6
	ds_write2_b32 v42, v39, v41 offset1:8
.LBB0_41:
	s_or_b64 exec, exec, s[4:5]
	v_add_u32_e32 v73, 0x600, v53
	s_waitcnt lgkmcnt(0)
	s_barrier
	ds_read2_b32 v[43:44], v73 offset0:64 offset1:176
	v_add_u32_e32 v39, 0x1000, v53
	ds_read2_b32 v[45:46], v39 offset0:96 offset1:208
	v_add_u32_e32 v74, 0xa00, v53
	ds_read2_b32 v[47:48], v74 offset0:32 offset1:144
	s_waitcnt lgkmcnt(2)
	v_lshrrev_b32_e32 v69, 16, v44
	v_mul_f16_sdwa v90, v29, v69 dst_sel:DWORD dst_unused:UNUSED_PAD src0_sel:WORD_1 src1_sel:DWORD
	s_waitcnt lgkmcnt(1)
	v_lshrrev_b32_e32 v75, 16, v45
	v_fma_f16 v90, v29, v44, v90
	v_mul_f16_sdwa v44, v29, v44 dst_sel:DWORD dst_unused:UNUSED_PAD src0_sel:WORD_1 src1_sel:DWORD
	v_fma_f16 v44, v29, v69, -v44
	v_mul_f16_sdwa v69, v30, v75 dst_sel:DWORD dst_unused:UNUSED_PAD src0_sel:WORD_1 src1_sel:DWORD
	s_waitcnt lgkmcnt(0)
	v_lshrrev_b32_e32 v78, 16, v47
	v_add_u32_e32 v51, 0x1400, v53
	v_fma_f16 v69, v30, v45, v69
	v_mul_f16_sdwa v45, v30, v45 dst_sel:DWORD dst_unused:UNUSED_PAD src0_sel:WORD_1 src1_sel:DWORD
	ds_read2_b32 v[51:52], v51 offset0:64 offset1:176
	v_fma_f16 v45, v30, v75, -v45
	v_mul_f16_sdwa v75, v29, v78 dst_sel:DWORD dst_unused:UNUSED_PAD src0_sel:WORD_1 src1_sel:DWORD
	v_lshrrev_b32_e32 v79, 16, v46
	v_add_u32_e32 v71, 0xc00, v53
	v_fma_f16 v75, v29, v47, v75
	v_mul_f16_sdwa v47, v29, v47 dst_sel:DWORD dst_unused:UNUSED_PAD src0_sel:WORD_1 src1_sel:DWORD
	ds_read2_b32 v[71:72], v71 offset0:128 offset1:240
	v_fma_f16 v47, v29, v78, -v47
	v_mul_f16_sdwa v78, v30, v79 dst_sel:DWORD dst_unused:UNUSED_PAD src0_sel:WORD_1 src1_sel:DWORD
	v_lshrrev_b32_e32 v81, 16, v48
	v_fma_f16 v78, v30, v46, v78
	v_mul_f16_sdwa v46, v30, v46 dst_sel:DWORD dst_unused:UNUSED_PAD src0_sel:WORD_1 src1_sel:DWORD
	v_fma_f16 v46, v30, v79, -v46
	v_mul_f16_sdwa v79, v29, v81 dst_sel:DWORD dst_unused:UNUSED_PAD src0_sel:WORD_1 src1_sel:DWORD
	s_waitcnt lgkmcnt(1)
	v_lshrrev_b32_e32 v82, 16, v51
	v_fma_f16 v79, v29, v48, v79
	v_mul_f16_sdwa v48, v29, v48 dst_sel:DWORD dst_unused:UNUSED_PAD src0_sel:WORD_1 src1_sel:DWORD
	v_fma_f16 v48, v29, v81, -v48
	v_mul_f16_sdwa v81, v30, v82 dst_sel:DWORD dst_unused:UNUSED_PAD src0_sel:WORD_1 src1_sel:DWORD
	s_waitcnt lgkmcnt(0)
	v_lshrrev_b32_e32 v85, 16, v71
	v_fma_f16 v81, v30, v51, v81
	v_mul_f16_sdwa v51, v30, v51 dst_sel:DWORD dst_unused:UNUSED_PAD src0_sel:WORD_1 src1_sel:DWORD
	ds_read_b32 v84, v53 offset:6272
	v_fma_f16 v51, v30, v82, -v51
	v_mul_f16_sdwa v82, v29, v85 dst_sel:DWORD dst_unused:UNUSED_PAD src0_sel:WORD_1 src1_sel:DWORD
	v_lshrrev_b32_e32 v86, 16, v52
	v_fma_f16 v82, v29, v71, v82
	v_mul_f16_sdwa v71, v29, v71 dst_sel:DWORD dst_unused:UNUSED_PAD src0_sel:WORD_1 src1_sel:DWORD
	v_fma_f16 v71, v29, v85, -v71
	v_mul_f16_sdwa v85, v30, v86 dst_sel:DWORD dst_unused:UNUSED_PAD src0_sel:WORD_1 src1_sel:DWORD
	ds_read2_b32 v[41:42], v53 offset1:112
	v_lshrrev_b32_e32 v88, 16, v72
	v_fma_f16 v85, v30, v52, v85
	v_mul_f16_sdwa v52, v30, v52 dst_sel:DWORD dst_unused:UNUSED_PAD src0_sel:WORD_1 src1_sel:DWORD
	v_fma_f16 v52, v30, v86, -v52
	v_mul_f16_sdwa v86, v29, v88 dst_sel:DWORD dst_unused:UNUSED_PAD src0_sel:WORD_1 src1_sel:DWORD
	s_waitcnt lgkmcnt(1)
	v_lshrrev_b32_e32 v89, 16, v84
	v_fma_f16 v86, v29, v72, v86
	v_mul_f16_sdwa v72, v29, v72 dst_sel:DWORD dst_unused:UNUSED_PAD src0_sel:WORD_1 src1_sel:DWORD
	v_fma_f16 v29, v29, v88, -v72
	v_mul_f16_sdwa v72, v30, v89 dst_sel:DWORD dst_unused:UNUSED_PAD src0_sel:WORD_1 src1_sel:DWORD
	v_fma_f16 v72, v30, v84, v72
	v_mul_f16_sdwa v84, v30, v84 dst_sel:DWORD dst_unused:UNUSED_PAD src0_sel:WORD_1 src1_sel:DWORD
	v_add_f16_e32 v88, v90, v69
	s_waitcnt lgkmcnt(0)
	v_lshrrev_b32_e32 v39, 16, v41
	v_fma_f16 v30, v30, v89, -v84
	v_add_f16_e32 v84, v41, v90
	v_fma_f16 v41, v88, -0.5, v41
	v_sub_f16_e32 v88, v44, v45
	s_mov_b32 s4, 0xbaee
	s_movk_i32 s5, 0x3aee
	v_fma_f16 v89, v88, s4, v41
	v_fma_f16 v41, v88, s5, v41
	v_add_f16_e32 v88, v39, v44
	v_add_f16_e32 v44, v44, v45
	v_fma_f16 v39, v44, -0.5, v39
	v_sub_f16_e32 v44, v90, v69
	v_add_u32_e32 v77, 0x200, v53
	v_add_f16_e32 v88, v88, v45
	v_fma_f16 v45, v44, s5, v39
	v_fma_f16 v44, v44, s4, v39
	v_add_f16_e32 v39, v42, v75
	ds_read2_b32 v[49:50], v77 offset0:96 offset1:208
	v_add_f16_e32 v90, v39, v78
	v_add_f16_e32 v39, v75, v78
	v_lshrrev_b32_e32 v76, 16, v42
	v_fma_f16 v39, v39, -0.5, v42
	v_sub_f16_e32 v42, v47, v46
	v_fma_f16 v91, v42, s4, v39
	v_fma_f16 v42, v42, s5, v39
	v_add_f16_e32 v39, v76, v47
	v_add_f16_e32 v92, v39, v46
	v_add_f16_e32 v39, v47, v46
	v_fma_f16 v39, v39, -0.5, v76
	v_sub_f16_e32 v46, v75, v78
	v_fma_f16 v47, v46, s5, v39
	v_fma_f16 v46, v46, s4, v39
	s_waitcnt lgkmcnt(0)
	v_add_f16_e32 v39, v49, v79
	v_add_f16_e32 v75, v39, v81
	;; [unrolled: 1-line block ×3, first 2 shown]
	v_lshrrev_b32_e32 v80, 16, v49
	v_fma_f16 v39, v39, -0.5, v49
	v_sub_f16_e32 v49, v48, v51
	v_fma_f16 v76, v49, s4, v39
	v_fma_f16 v49, v49, s5, v39
	v_add_f16_e32 v39, v80, v48
	v_add_f16_e32 v78, v39, v51
	;; [unrolled: 1-line block ×3, first 2 shown]
	v_fma_f16 v39, v39, -0.5, v80
	v_sub_f16_e32 v48, v79, v81
	v_fma_f16 v51, v48, s5, v39
	v_fma_f16 v48, v48, s4, v39
	v_add_f16_e32 v39, v50, v82
	v_add_f16_e32 v79, v39, v85
	;; [unrolled: 1-line block ×3, first 2 shown]
	v_lshrrev_b32_e32 v83, 16, v50
	v_fma_f16 v39, v39, -0.5, v50
	v_sub_f16_e32 v50, v71, v52
	v_fma_f16 v80, v50, s4, v39
	v_fma_f16 v50, v50, s5, v39
	v_add_f16_e32 v39, v83, v71
	v_add_f16_e32 v81, v39, v52
	;; [unrolled: 1-line block ×3, first 2 shown]
	v_fma_f16 v39, v39, -0.5, v83
	v_sub_f16_e32 v52, v82, v85
	v_fma_f16 v71, v52, s5, v39
	v_fma_f16 v52, v52, s4, v39
	v_add_f16_e32 v39, v43, v86
	v_add_f16_e32 v82, v39, v72
	;; [unrolled: 1-line block ×3, first 2 shown]
	v_lshrrev_b32_e32 v87, 16, v43
	v_fma_f16 v39, v39, -0.5, v43
	v_sub_f16_e32 v43, v29, v30
	v_fma_f16 v83, v43, s4, v39
	v_fma_f16 v39, v43, s5, v39
	v_add_f16_e32 v43, v87, v29
	v_add_f16_e32 v29, v29, v30
	;; [unrolled: 1-line block ×4, first 2 shown]
	v_fma_f16 v29, v29, -0.5, v87
	v_sub_f16_e32 v30, v86, v72
	v_fma_f16 v72, v30, s5, v29
	v_fma_f16 v69, v30, s4, v29
	v_pack_b32_f16 v29, v84, v88
	v_pack_b32_f16 v30, v89, v45
	s_barrier
	ds_write2_b32 v105, v29, v30 offset1:16
	v_pack_b32_f16 v29, v41, v44
	ds_write_b32 v105, v29 offset:128
	v_pack_b32_f16 v29, v90, v92
	v_pack_b32_f16 v30, v91, v47
	ds_write2_b32 v106, v29, v30 offset1:16
	v_pack_b32_f16 v29, v42, v46
	ds_write_b32 v106, v29 offset:128
	v_pack_b32_f16 v29, v75, v78
	v_pack_b32_f16 v30, v76, v51
	ds_write2_b32 v107, v29, v30 offset1:16
	v_pack_b32_f16 v29, v49, v48
	ds_write_b32 v107, v29 offset:128
	v_pack_b32_f16 v29, v79, v81
	v_pack_b32_f16 v30, v80, v71
	ds_write2_b32 v108, v29, v30 offset1:16
	v_pack_b32_f16 v29, v50, v52
	ds_write_b32 v108, v29 offset:128
	v_pack_b32_f16 v29, v82, v43
	v_pack_b32_f16 v30, v83, v72
	ds_write2_b32 v109, v29, v30 offset1:16
	v_pack_b32_f16 v29, v39, v69
	ds_write_b32 v109, v29 offset:128
	s_waitcnt lgkmcnt(0)
	s_barrier
	ds_read2_b32 v[29:30], v53 offset1:112
	ds_read2_b32 v[51:52], v77 offset0:112 offset1:224
	ds_read2_b32 v[49:50], v73 offset0:96 offset1:208
	;; [unrolled: 1-line block ×3, first 2 shown]
	v_add_u32_e32 v43, 0xe00, v53
	v_add_u32_e32 v45, 0x1200, v53
	;; [unrolled: 1-line block ×3, first 2 shown]
	ds_read2_b32 v[43:44], v43 offset0:64 offset1:176
	ds_read2_b32 v[45:46], v45 offset0:48 offset1:160
	;; [unrolled: 1-line block ×3, first 2 shown]
	s_and_saveexec_b64 s[4:5], s[2:3]
	s_cbranch_execz .LBB0_43
; %bb.42:
	v_add_u32_e32 v35, 0x380, v53
	ds_read2_b32 v[39:40], v35 offset1:240
	v_add_u32_e32 v35, 0xb00, v53
	v_add_u32_e32 v37, 0x1280, v53
	ds_read2_b32 v[35:36], v35 offset1:240
	ds_read2_b32 v[37:38], v37 offset1:240
	ds_read_b32 v115, v53 offset:6656
	s_waitcnt lgkmcnt(3)
	v_lshrrev_b32_e32 v69, 16, v39
	v_lshrrev_b32_e32 v70, 16, v40
	s_waitcnt lgkmcnt(2)
	v_lshrrev_b32_e32 v111, 16, v35
	v_lshrrev_b32_e32 v113, 16, v36
	;; [unrolled: 3-line block ×3, first 2 shown]
	s_waitcnt lgkmcnt(0)
	v_lshrrev_b32_e32 v116, 16, v115
.LBB0_43:
	s_or_b64 exec, exec, s[4:5]
	s_waitcnt lgkmcnt(5)
	v_lshrrev_b32_e32 v71, 16, v51
	v_mul_f16_sdwa v83, v4, v71 dst_sel:DWORD dst_unused:UNUSED_PAD src0_sel:WORD_1 src1_sel:DWORD
	s_waitcnt lgkmcnt(4)
	v_lshrrev_b32_e32 v72, 16, v49
	v_fma_f16 v83, v4, v51, v83
	v_mul_f16_sdwa v51, v4, v51 dst_sel:DWORD dst_unused:UNUSED_PAD src0_sel:WORD_1 src1_sel:DWORD
	v_fma_f16 v4, v4, v71, -v51
	v_mul_f16_sdwa v51, v5, v72 dst_sel:DWORD dst_unused:UNUSED_PAD src0_sel:WORD_1 src1_sel:DWORD
	s_waitcnt lgkmcnt(3)
	v_lshrrev_b32_e32 v73, 16, v41
	v_fma_f16 v51, v5, v49, v51
	v_mul_f16_sdwa v49, v5, v49 dst_sel:DWORD dst_unused:UNUSED_PAD src0_sel:WORD_1 src1_sel:DWORD
	v_fma_f16 v5, v5, v72, -v49
	;; [unrolled: 6-line block ×5, first 2 shown]
	v_mul_f16_sdwa v45, v34, v76 dst_sel:DWORD dst_unused:UNUSED_PAD src0_sel:WORD_1 src1_sel:DWORD
	v_lshrrev_b32_e32 v77, 16, v52
	v_fma_f16 v45, v34, v47, v45
	v_mul_f16_sdwa v47, v34, v47 dst_sel:DWORD dst_unused:UNUSED_PAD src0_sel:WORD_1 src1_sel:DWORD
	v_fma_f16 v34, v34, v76, -v47
	v_mul_f16_sdwa v47, v8, v77 dst_sel:DWORD dst_unused:UNUSED_PAD src0_sel:WORD_1 src1_sel:DWORD
	v_lshrrev_b32_e32 v78, 16, v50
	v_fma_f16 v47, v8, v52, v47
	v_mul_f16_sdwa v52, v8, v52 dst_sel:DWORD dst_unused:UNUSED_PAD src0_sel:WORD_1 src1_sel:DWORD
	v_fma_f16 v8, v8, v77, -v52
	v_mul_f16_sdwa v52, v9, v78 dst_sel:DWORD dst_unused:UNUSED_PAD src0_sel:WORD_1 src1_sel:DWORD
	v_lshrrev_b32_e32 v79, 16, v42
	v_fma_f16 v52, v9, v50, v52
	v_mul_f16_sdwa v50, v9, v50 dst_sel:DWORD dst_unused:UNUSED_PAD src0_sel:WORD_1 src1_sel:DWORD
	v_fma_f16 v9, v9, v78, -v50
	v_mul_f16_sdwa v50, v10, v79 dst_sel:DWORD dst_unused:UNUSED_PAD src0_sel:WORD_1 src1_sel:DWORD
	v_lshrrev_b32_e32 v80, 16, v44
	v_fma_f16 v50, v10, v42, v50
	v_mul_f16_sdwa v42, v10, v42 dst_sel:DWORD dst_unused:UNUSED_PAD src0_sel:WORD_1 src1_sel:DWORD
	v_fma_f16 v10, v10, v79, -v42
	v_mul_f16_sdwa v42, v11, v80 dst_sel:DWORD dst_unused:UNUSED_PAD src0_sel:WORD_1 src1_sel:DWORD
	v_lshrrev_b32_e32 v81, 16, v46
	v_fma_f16 v42, v11, v44, v42
	v_mul_f16_sdwa v44, v11, v44 dst_sel:DWORD dst_unused:UNUSED_PAD src0_sel:WORD_1 src1_sel:DWORD
	v_fma_f16 v11, v11, v80, -v44
	v_mul_f16_sdwa v44, v31, v81 dst_sel:DWORD dst_unused:UNUSED_PAD src0_sel:WORD_1 src1_sel:DWORD
	v_lshrrev_b32_e32 v82, 16, v48
	v_fma_f16 v44, v31, v46, v44
	v_mul_f16_sdwa v46, v31, v46 dst_sel:DWORD dst_unused:UNUSED_PAD src0_sel:WORD_1 src1_sel:DWORD
	v_fma_f16 v31, v31, v81, -v46
	v_mul_f16_sdwa v46, v32, v82 dst_sel:DWORD dst_unused:UNUSED_PAD src0_sel:WORD_1 src1_sel:DWORD
	v_fma_f16 v46, v32, v48, v46
	v_mul_f16_sdwa v48, v32, v48 dst_sel:DWORD dst_unused:UNUSED_PAD src0_sel:WORD_1 src1_sel:DWORD
	v_fma_f16 v32, v32, v82, -v48
	v_add_f16_e32 v48, v83, v45
	v_add_f16_e32 v71, v4, v34
	v_sub_f16_e32 v4, v4, v34
	v_add_f16_e32 v34, v51, v43
	v_add_f16_e32 v72, v5, v33
	v_sub_f16_e32 v45, v83, v45
	v_sub_f16_e32 v43, v51, v43
	v_sub_f16_e32 v5, v5, v33
	v_add_f16_e32 v33, v49, v41
	v_add_f16_e32 v51, v6, v7
	v_sub_f16_e32 v41, v41, v49
	v_sub_f16_e32 v6, v7, v6
	v_add_f16_e32 v7, v34, v48
	v_add_f16_e32 v49, v72, v71
	v_sub_f16_e32 v73, v34, v48
	v_sub_f16_e32 v74, v72, v71
	;; [unrolled: 1-line block ×6, first 2 shown]
	v_add_f16_e32 v75, v41, v43
	v_add_f16_e32 v76, v6, v5
	v_sub_f16_e32 v77, v41, v43
	v_sub_f16_e32 v78, v6, v5
	;; [unrolled: 1-line block ×4, first 2 shown]
	v_add_f16_e32 v7, v33, v7
	v_add_f16_e32 v33, v51, v49
	v_sub_f16_e32 v41, v45, v41
	v_sub_f16_e32 v6, v4, v6
	v_add_f16_e32 v45, v75, v45
	v_add_f16_e32 v4, v76, v4
	;; [unrolled: 1-line block ×3, first 2 shown]
	v_add_f16_sdwa v29, v29, v33 dst_sel:DWORD dst_unused:UNUSED_PAD src0_sel:WORD_1 src1_sel:DWORD
	v_mul_f16_e32 v48, 0x3a52, v48
	v_mul_f16_e32 v51, 0x3a52, v71
	s_movk_i32 s17, 0x2b26
	v_mul_f16_e32 v71, 0x2b26, v34
	v_mul_f16_e32 v75, 0x2b26, v72
	;; [unrolled: 1-line block ×4, first 2 shown]
	s_mov_b32 s6, 0xbb00
	v_mul_f16_e32 v78, 0xbb00, v43
	v_mul_f16_e32 v79, 0xbb00, v5
	s_mov_b32 s18, 0xbcab
	s_movk_i32 s7, 0x39e0
	s_mov_b32 s14, 0xb9e0
	s_mov_b32 s19, 0xb574
	s_movk_i32 s15, 0x3574
	v_fma_f16 v7, v7, s18, v49
	v_fma_f16 v33, v33, s18, v29
	;; [unrolled: 1-line block ×4, first 2 shown]
	v_fma_f16 v71, v73, s7, -v71
	v_fma_f16 v75, v74, s7, -v75
	;; [unrolled: 1-line block ×4, first 2 shown]
	v_fma_f16 v73, v41, s19, v76
	v_fma_f16 v74, v6, s19, v77
	v_fma_f16 v5, v5, s6, -v77
	v_fma_f16 v41, v41, s15, -v78
	;; [unrolled: 1-line block ×3, first 2 shown]
	s_mov_b32 s16, 0xb70e
	v_fma_f16 v43, v43, s6, -v76
	v_add_f16_e32 v34, v34, v7
	v_add_f16_e32 v72, v72, v33
	;; [unrolled: 1-line block ×6, first 2 shown]
	v_fma_f16 v48, v45, s16, v73
	v_fma_f16 v51, v4, s16, v74
	;; [unrolled: 1-line block ×6, first 2 shown]
	v_add_f16_e32 v6, v51, v34
	v_sub_f16_e32 v45, v72, v48
	v_add_f16_e32 v73, v4, v7
	v_sub_f16_e32 v74, v33, v41
	v_sub_f16_e32 v4, v7, v4
	v_add_f16_e32 v7, v41, v33
	v_sub_f16_e32 v33, v34, v51
	v_add_f16_e32 v34, v48, v72
	v_add_f16_e32 v41, v47, v46
	;; [unrolled: 1-line block ×3, first 2 shown]
	v_sub_f16_e32 v46, v47, v46
	v_sub_f16_e32 v8, v8, v32
	v_add_f16_e32 v32, v52, v44
	v_add_f16_e32 v47, v9, v31
	v_sub_f16_e32 v44, v52, v44
	v_sub_f16_e32 v9, v9, v31
	v_add_f16_e32 v31, v50, v42
	v_add_f16_e32 v51, v10, v11
	;; [unrolled: 4-line block ×3, first 2 shown]
	v_sub_f16_e32 v76, v71, v5
	v_add_f16_e32 v77, v43, v75
	v_add_f16_e32 v5, v5, v71
	v_sub_f16_e32 v43, v75, v43
	v_sub_f16_e32 v52, v32, v41
	v_sub_f16_e32 v71, v47, v48
	v_sub_f16_e32 v41, v41, v31
	v_sub_f16_e32 v48, v48, v51
	v_sub_f16_e32 v32, v31, v32
	v_sub_f16_e32 v47, v51, v47
	v_add_f16_e32 v72, v42, v44
	v_add_f16_e32 v75, v10, v9
	v_sub_f16_e32 v78, v42, v44
	v_sub_f16_e32 v79, v10, v9
	v_add_f16_e32 v11, v31, v11
	v_add_f16_e32 v31, v51, v50
	v_sub_f16_e32 v42, v46, v42
	v_sub_f16_e32 v10, v8, v10
	;; [unrolled: 1-line block ×4, first 2 shown]
	v_add_f16_e32 v46, v72, v46
	v_add_f16_e32 v8, v75, v8
	;; [unrolled: 1-line block ×3, first 2 shown]
	v_add_f16_sdwa v30, v30, v31 dst_sel:DWORD dst_unused:UNUSED_PAD src0_sel:WORD_1 src1_sel:DWORD
	v_mul_f16_e32 v41, 0x3a52, v41
	v_mul_f16_e32 v48, 0x3a52, v48
	;; [unrolled: 1-line block ×8, first 2 shown]
	v_fma_f16 v11, v11, s18, v50
	v_fma_f16 v31, v31, s18, v30
	;; [unrolled: 1-line block ×4, first 2 shown]
	v_fma_f16 v51, v52, s7, -v51
	v_fma_f16 v72, v71, s7, -v72
	;; [unrolled: 1-line block ×4, first 2 shown]
	v_fma_f16 v52, v42, s19, v75
	v_fma_f16 v71, v10, s19, v78
	v_fma_f16 v44, v44, s6, -v75
	v_fma_f16 v9, v9, s6, -v78
	;; [unrolled: 1-line block ×4, first 2 shown]
	v_add_f16_e32 v32, v32, v11
	v_add_f16_e32 v47, v47, v31
	;; [unrolled: 1-line block ×6, first 2 shown]
	v_fma_f16 v41, v46, s16, v52
	v_fma_f16 v48, v8, s16, v71
	v_pack_b32_f16 v5, v5, v43
	v_pack_b32_f16 v4, v4, v7
	v_fma_f16 v44, v46, s16, v44
	v_fma_f16 v9, v8, s16, v9
	v_fma_f16 v42, v46, s16, v42
	v_fma_f16 v8, v8, s16, v10
	v_add_f16_e32 v10, v48, v32
	v_sub_f16_e32 v46, v47, v41
	s_barrier
	v_pack_b32_f16 v29, v49, v29
	v_pack_b32_f16 v6, v6, v45
	ds_write2_b32 v117, v5, v4 offset0:192 offset1:240
	v_pack_b32_f16 v4, v33, v34
	v_add_f16_e32 v52, v8, v11
	v_sub_f16_e32 v71, v31, v42
	v_sub_f16_e32 v75, v51, v9
	v_add_f16_e32 v78, v44, v72
	ds_write2_b32 v117, v29, v6 offset1:48
	v_pack_b32_f16 v6, v73, v74
	v_pack_b32_f16 v29, v76, v77
	ds_write_b32 v117, v4 offset:1152
	v_pack_b32_f16 v4, v50, v30
	v_pack_b32_f16 v5, v10, v46
	v_add_f16_e32 v9, v9, v51
	v_sub_f16_e32 v44, v72, v44
	v_sub_f16_e32 v8, v11, v8
	v_add_f16_e32 v11, v42, v31
	ds_write2_b32 v117, v6, v29 offset0:96 offset1:144
	ds_write2_b32 v118, v4, v5 offset1:48
	v_pack_b32_f16 v4, v52, v71
	v_pack_b32_f16 v5, v75, v78
	v_sub_f16_e32 v31, v32, v48
	v_add_f16_e32 v32, v41, v47
	ds_write2_b32 v118, v4, v5 offset0:96 offset1:144
	v_pack_b32_f16 v4, v9, v44
	v_pack_b32_f16 v5, v8, v11
	ds_write2_b32 v118, v4, v5 offset0:192 offset1:240
	v_pack_b32_f16 v4, v31, v32
	ds_write_b32 v118, v4 offset:1152
	s_and_saveexec_b64 s[4:5], s[2:3]
	s_cbranch_execz .LBB0_45
; %bb.44:
	v_mul_f16_sdwa v5, v28, v116 dst_sel:DWORD dst_unused:UNUSED_PAD src0_sel:WORD_1 src1_sel:DWORD
	v_mul_f16_sdwa v7, v3, v114 dst_sel:DWORD dst_unused:UNUSED_PAD src0_sel:WORD_1 src1_sel:DWORD
	;; [unrolled: 1-line block ×7, first 2 shown]
	v_fma_f16 v5, v28, v115, v5
	v_fma_f16 v7, v3, v37, v7
	;; [unrolled: 1-line block ×4, first 2 shown]
	v_mul_f16_sdwa v29, v27, v112 dst_sel:DWORD dst_unused:UNUSED_PAD src0_sel:WORD_1 src1_sel:DWORD
	v_fma_f16 v28, v28, v116, -v33
	v_mul_f16_sdwa v33, v0, v40 dst_sel:DWORD dst_unused:UNUSED_PAD src0_sel:WORD_1 src1_sel:DWORD
	v_fma_f16 v2, v2, v113, -v34
	v_mul_f16_sdwa v34, v3, v37 dst_sel:DWORD dst_unused:UNUSED_PAD src0_sel:WORD_1 src1_sel:DWORD
	v_mul_f16_sdwa v37, v27, v38 dst_sel:DWORD dst_unused:UNUSED_PAD src0_sel:WORD_1 src1_sel:DWORD
	;; [unrolled: 1-line block ×3, first 2 shown]
	v_fma_f16 v4, v0, v40, v4
	v_fma_f16 v29, v27, v38, v29
	v_fma_f16 v0, v0, v70, -v33
	v_fma_f16 v3, v3, v114, -v34
	;; [unrolled: 1-line block ×4, first 2 shown]
	v_sub_f16_e32 v6, v4, v5
	v_sub_f16_e32 v9, v7, v8
	;; [unrolled: 1-line block ×3, first 2 shown]
	v_add_f16_e32 v33, v28, v0
	v_add_f16_e32 v34, v2, v3
	v_add_f16_e32 v35, v27, v1
	v_sub_f16_e32 v0, v0, v28
	v_sub_f16_e32 v2, v3, v2
	;; [unrolled: 1-line block ×5, first 2 shown]
	v_add_f16_e32 v9, v9, v30
	v_add_f16_e32 v4, v5, v4
	;; [unrolled: 1-line block ×4, first 2 shown]
	v_sub_f16_e32 v3, v0, v2
	v_sub_f16_e32 v27, v2, v1
	v_add_f16_e32 v2, v2, v1
	v_add_f16_e32 v9, v9, v6
	;; [unrolled: 1-line block ×5, first 2 shown]
	v_sub_f16_e32 v6, v30, v6
	v_sub_f16_e32 v0, v1, v0
	v_mul_f16_e32 v31, 0x3846, v31
	v_sub_f16_e32 v36, v33, v34
	v_sub_f16_e32 v37, v34, v35
	v_add_f16_e32 v34, v34, v40
	v_sub_f16_e32 v7, v4, v5
	v_sub_f16_e32 v11, v5, v8
	v_add_f16_e32 v5, v5, v42
	v_mul_f16_e32 v27, 0x3846, v27
	v_mul_f16_e32 v30, 0xbb00, v6
	;; [unrolled: 1-line block ×3, first 2 shown]
	v_fma_f16 v32, v10, s19, v31
	v_mul_f16_e32 v36, 0x3a52, v36
	v_mul_f16_e32 v38, 0x2b26, v37
	v_add_f16_e32 v40, v69, v34
	v_mul_f16_e32 v7, 0x3a52, v7
	v_mul_f16_e32 v29, 0x2b26, v11
	v_add_f16_e32 v39, v39, v5
	v_fma_f16 v28, v3, s19, v27
	v_fma_f16 v10, v10, s15, -v30
	v_sub_f16_e32 v30, v35, v33
	v_sub_f16_e32 v4, v8, v4
	v_fma_f16 v1, v3, s15, -v1
	v_fma_f16 v0, v0, s6, -v27
	v_fma_f16 v37, v37, s17, v36
	v_fma_f16 v34, v34, s18, v40
	v_fma_f16 v11, v11, s17, v7
	v_fma_f16 v5, v5, s18, v39
	v_fma_f16 v28, v2, s16, v28
	v_fma_f16 v33, v30, s14, -v36
	v_fma_f16 v7, v4, s14, -v7
	v_fma_f16 v1, v2, s16, v1
	v_fma_f16 v8, v30, s7, -v38
	v_fma_f16 v6, v6, s6, -v31
	v_fma_f16 v0, v2, s16, v0
	v_fma_f16 v2, v4, s7, -v29
	v_fma_f16 v32, v9, s16, v32
	v_add_f16_e32 v37, v37, v34
	v_add_f16_e32 v11, v11, v5
	v_fma_f16 v10, v9, s16, v10
	v_add_f16_e32 v33, v33, v34
	v_add_f16_e32 v7, v7, v5
	;; [unrolled: 1-line block ×3, first 2 shown]
	v_fma_f16 v6, v9, s16, v6
	v_add_f16_e32 v2, v2, v5
	v_sub_f16_e32 v3, v7, v1
	v_sub_f16_e32 v9, v8, v6
	v_add_f16_e32 v4, v0, v2
	v_add_f16_e32 v5, v6, v8
	v_sub_f16_e32 v0, v2, v0
	v_sub_f16_e32 v2, v33, v10
	v_add_f16_e32 v1, v1, v7
	v_sub_f16_e32 v6, v37, v32
	v_add_f16_e32 v7, v28, v11
	v_add_f16_e32 v35, v10, v33
	v_pack_b32_f16 v6, v7, v6
	v_add_u32_e32 v7, 0x1400, v110
	v_pack_b32_f16 v1, v1, v2
	v_pack_b32_f16 v0, v0, v5
	v_add_f16_e32 v41, v32, v37
	v_sub_f16_e32 v42, v11, v28
	ds_write2_b32 v7, v1, v0 offset0:160 offset1:208
	v_pack_b32_f16 v0, v4, v9
	v_pack_b32_f16 v1, v3, v35
	v_add_u32_e32 v2, 0x1800, v110
	v_pack_b32_f16 v8, v39, v40
	ds_write2_b32 v2, v0, v1 offset1:48
	v_pack_b32_f16 v0, v42, v41
	ds_write2_b32 v7, v8, v6 offset0:64 offset1:112
	ds_write_b32 v110, v0 offset:6528
.LBB0_45:
	s_or_b64 exec, exec, s[4:5]
	v_add_u32_e32 v6, 0x200, v53
	s_waitcnt lgkmcnt(0)
	s_barrier
	ds_read2_b32 v[7:8], v6 offset0:96 offset1:208
	v_add_u32_e32 v5, 0xa00, v53
	ds_read2_b32 v[9:10], v5 offset0:32 offset1:144
	v_add_u32_e32 v2, 0xc00, v53
	;; [unrolled: 2-line block ×3, first 2 shown]
	s_waitcnt lgkmcnt(2)
	v_lshrrev_b32_e32 v11, 16, v8
	ds_read2_b32 v[29:30], v3 offset0:64 offset1:176
	v_add_u32_e32 v4, 0x600, v53
	ds_read2_b32 v[31:32], v4 offset0:64 offset1:176
	v_mul_f16_sdwa v49, v12, v11 dst_sel:DWORD dst_unused:UNUSED_PAD src0_sel:WORD_1 src1_sel:DWORD
	s_waitcnt lgkmcnt(3)
	v_lshrrev_b32_e32 v35, 16, v9
	v_fma_f16 v49, v12, v8, v49
	v_mul_f16_sdwa v8, v12, v8 dst_sel:DWORD dst_unused:UNUSED_PAD src0_sel:WORD_1 src1_sel:DWORD
	v_add_u32_e32 v33, 0x1000, v53
	v_fma_f16 v8, v12, v11, -v8
	v_mul_f16_sdwa v11, v13, v35 dst_sel:DWORD dst_unused:UNUSED_PAD src0_sel:WORD_1 src1_sel:DWORD
	s_waitcnt lgkmcnt(2)
	v_lshrrev_b32_e32 v36, 16, v28
	ds_read2_b32 v[33:34], v33 offset0:96 offset1:208
	v_fma_f16 v11, v13, v9, v11
	v_mul_f16_sdwa v9, v13, v9 dst_sel:DWORD dst_unused:UNUSED_PAD src0_sel:WORD_1 src1_sel:DWORD
	s_waitcnt lgkmcnt(2)
	v_lshrrev_b32_e32 v37, 16, v29
	v_fma_f16 v9, v13, v35, -v9
	v_mul_f16_sdwa v12, v14, v36 dst_sel:DWORD dst_unused:UNUSED_PAD src0_sel:WORD_1 src1_sel:DWORD
	v_mul_f16_sdwa v13, v14, v28 dst_sel:DWORD dst_unused:UNUSED_PAD src0_sel:WORD_1 src1_sel:DWORD
	s_waitcnt lgkmcnt(1)
	v_lshrrev_b32_e32 v39, 16, v31
	v_fma_f16 v12, v14, v28, v12
	v_fma_f16 v13, v14, v36, -v13
	v_mul_f16_sdwa v14, v15, v37 dst_sel:DWORD dst_unused:UNUSED_PAD src0_sel:WORD_1 src1_sel:DWORD
	v_mul_f16_sdwa v28, v15, v29 dst_sel:DWORD dst_unused:UNUSED_PAD src0_sel:WORD_1 src1_sel:DWORD
	v_lshrrev_b32_e32 v40, 16, v10
	v_fma_f16 v14, v15, v29, v14
	v_fma_f16 v15, v15, v37, -v28
	v_mul_f16_sdwa v28, v16, v39 dst_sel:DWORD dst_unused:UNUSED_PAD src0_sel:WORD_1 src1_sel:DWORD
	v_mul_f16_sdwa v29, v16, v31 dst_sel:DWORD dst_unused:UNUSED_PAD src0_sel:WORD_1 src1_sel:DWORD
	v_fma_f16 v28, v16, v31, v28
	v_fma_f16 v16, v16, v39, -v29
	v_mul_f16_sdwa v29, v17, v40 dst_sel:DWORD dst_unused:UNUSED_PAD src0_sel:WORD_1 src1_sel:DWORD
	s_waitcnt lgkmcnt(0)
	v_lshrrev_b32_e32 v41, 16, v33
	v_fma_f16 v29, v17, v10, v29
	v_mul_f16_sdwa v10, v17, v10 dst_sel:DWORD dst_unused:UNUSED_PAD src0_sel:WORD_1 src1_sel:DWORD
	v_lshrrev_b32_e32 v42, 16, v30
	v_fma_f16 v10, v17, v40, -v10
	v_mul_f16_sdwa v17, v18, v41 dst_sel:DWORD dst_unused:UNUSED_PAD src0_sel:WORD_1 src1_sel:DWORD
	v_mul_f16_sdwa v31, v18, v33 dst_sel:DWORD dst_unused:UNUSED_PAD src0_sel:WORD_1 src1_sel:DWORD
	ds_read2_b32 v[0:1], v53 offset1:112
	v_fma_f16 v17, v18, v33, v17
	v_fma_f16 v18, v18, v41, -v31
	v_mul_f16_sdwa v31, v19, v42 dst_sel:DWORD dst_unused:UNUSED_PAD src0_sel:WORD_1 src1_sel:DWORD
	ds_read_b32 v43, v53 offset:6272
	v_lshrrev_b32_e32 v45, 16, v32
	v_fma_f16 v31, v19, v30, v31
	v_mul_f16_sdwa v30, v19, v30 dst_sel:DWORD dst_unused:UNUSED_PAD src0_sel:WORD_1 src1_sel:DWORD
	v_fma_f16 v19, v19, v42, -v30
	v_mul_f16_sdwa v30, v20, v45 dst_sel:DWORD dst_unused:UNUSED_PAD src0_sel:WORD_1 src1_sel:DWORD
	v_lshrrev_b32_e32 v46, 16, v27
	v_fma_f16 v30, v20, v32, v30
	v_mul_f16_sdwa v32, v20, v32 dst_sel:DWORD dst_unused:UNUSED_PAD src0_sel:WORD_1 src1_sel:DWORD
	v_fma_f16 v20, v20, v45, -v32
	v_mul_f16_sdwa v32, v21, v46 dst_sel:DWORD dst_unused:UNUSED_PAD src0_sel:WORD_1 src1_sel:DWORD
	v_add_f16_e32 v35, v11, v12
	v_lshrrev_b32_e32 v47, 16, v34
	v_fma_f16 v32, v21, v27, v32
	v_mul_f16_sdwa v27, v21, v27 dst_sel:DWORD dst_unused:UNUSED_PAD src0_sel:WORD_1 src1_sel:DWORD
	s_waitcnt lgkmcnt(1)
	v_fma_f16 v35, v35, -0.5, v0
	v_sub_f16_e32 v36, v8, v15
	s_mov_b32 s2, 0xbb9c
	s_movk_i32 s5, 0x3b9c
	s_waitcnt lgkmcnt(0)
	v_lshrrev_b32_e32 v48, 16, v43
	v_fma_f16 v21, v21, v46, -v27
	v_mul_f16_sdwa v27, v22, v47 dst_sel:DWORD dst_unused:UNUSED_PAD src0_sel:WORD_1 src1_sel:DWORD
	v_mul_f16_sdwa v33, v22, v34 dst_sel:DWORD dst_unused:UNUSED_PAD src0_sel:WORD_1 src1_sel:DWORD
	v_fma_f16 v37, v36, s2, v35
	v_sub_f16_e32 v39, v9, v13
	s_mov_b32 s3, 0xb8b4
	v_sub_f16_e32 v40, v49, v11
	v_sub_f16_e32 v41, v14, v12
	v_fma_f16 v35, v36, s5, v35
	s_movk_i32 s6, 0x38b4
	v_fma_f16 v27, v22, v34, v27
	v_fma_f16 v22, v22, v47, -v33
	v_mul_f16_sdwa v33, v23, v48 dst_sel:DWORD dst_unused:UNUSED_PAD src0_sel:WORD_1 src1_sel:DWORD
	v_mul_f16_sdwa v34, v23, v43 dst_sel:DWORD dst_unused:UNUSED_PAD src0_sel:WORD_1 src1_sel:DWORD
	v_fma_f16 v37, v39, s3, v37
	v_add_f16_e32 v40, v40, v41
	s_movk_i32 s4, 0x34f2
	v_fma_f16 v35, v39, s6, v35
	v_fma_f16 v33, v23, v43, v33
	v_fma_f16 v23, v23, v48, -v34
	v_add_f16_e32 v34, v0, v49
	v_fma_f16 v37, v40, s4, v37
	v_fma_f16 v35, v40, s4, v35
	v_add_f16_e32 v40, v49, v14
	v_lshrrev_b32_e32 v2, 16, v0
	v_add_f16_e32 v34, v34, v11
	v_fma_f16 v0, v40, -0.5, v0
	v_add_f16_e32 v34, v34, v12
	v_fma_f16 v40, v39, s5, v0
	v_sub_f16_e32 v41, v11, v49
	v_sub_f16_e32 v42, v12, v14
	v_fma_f16 v0, v39, s2, v0
	v_add_f16_e32 v39, v9, v13
	v_add_f16_e32 v34, v34, v14
	v_fma_f16 v40, v36, s3, v40
	v_add_f16_e32 v41, v41, v42
	v_fma_f16 v0, v36, s6, v0
	v_fma_f16 v39, v39, -0.5, v2
	v_sub_f16_e32 v14, v49, v14
	v_fma_f16 v40, v41, s4, v40
	v_fma_f16 v0, v41, s4, v0
	v_fma_f16 v41, v14, s5, v39
	v_sub_f16_e32 v11, v11, v12
	v_fma_f16 v12, v11, s6, v41
	v_sub_f16_e32 v41, v8, v9
	v_sub_f16_e32 v42, v15, v13
	v_fma_f16 v39, v14, s2, v39
	v_add_f16_e32 v41, v41, v42
	v_fma_f16 v39, v11, s3, v39
	v_fma_f16 v12, v41, s4, v12
	;; [unrolled: 1-line block ×3, first 2 shown]
	v_add_f16_e32 v41, v8, v15
	v_add_f16_e32 v36, v2, v8
	v_fma_f16 v2, v41, -0.5, v2
	v_add_f16_e32 v36, v36, v9
	v_fma_f16 v41, v11, s2, v2
	v_sub_f16_e32 v8, v9, v8
	v_sub_f16_e32 v9, v13, v15
	v_fma_f16 v2, v11, s5, v2
	v_add_f16_e32 v11, v29, v17
	v_add_f16_e32 v36, v36, v13
	v_fma_f16 v41, v14, s6, v41
	v_add_f16_e32 v8, v8, v9
	v_fma_f16 v11, v11, -0.5, v1
	v_sub_f16_e32 v13, v16, v19
	v_add_f16_e32 v36, v36, v15
	v_fma_f16 v9, v8, s4, v41
	v_fma_f16 v2, v14, s3, v2
	;; [unrolled: 1-line block ×3, first 2 shown]
	v_sub_f16_e32 v15, v10, v18
	v_sub_f16_e32 v41, v28, v29
	;; [unrolled: 1-line block ×3, first 2 shown]
	v_fma_f16 v11, v13, s5, v11
	v_fma_f16 v14, v15, s3, v14
	v_add_f16_e32 v41, v41, v42
	v_fma_f16 v11, v15, s6, v11
	v_fma_f16 v14, v41, s4, v14
	v_fma_f16 v11, v41, s4, v11
	v_add_f16_e32 v41, v28, v31
	v_lshrrev_b32_e32 v38, 16, v1
	v_fma_f16 v2, v8, s4, v2
	v_add_f16_e32 v8, v1, v28
	v_fma_f16 v1, v41, -0.5, v1
	v_add_f16_e32 v8, v8, v29
	v_fma_f16 v41, v15, s5, v1
	v_fma_f16 v1, v15, s2, v1
	v_add_f16_e32 v15, v10, v18
	v_add_f16_e32 v8, v8, v17
	v_sub_f16_e32 v42, v29, v28
	v_sub_f16_e32 v43, v17, v31
	v_fma_f16 v15, v15, -0.5, v38
	v_sub_f16_e32 v28, v28, v31
	v_add_f16_e32 v8, v8, v31
	v_fma_f16 v41, v13, s3, v41
	v_add_f16_e32 v42, v42, v43
	v_fma_f16 v1, v13, s6, v1
	v_fma_f16 v31, v28, s5, v15
	v_sub_f16_e32 v17, v29, v17
	v_fma_f16 v41, v42, s4, v41
	v_fma_f16 v1, v42, s4, v1
	;; [unrolled: 1-line block ×3, first 2 shown]
	v_sub_f16_e32 v31, v16, v10
	v_sub_f16_e32 v42, v19, v18
	v_fma_f16 v15, v28, s2, v15
	v_add_f16_e32 v31, v31, v42
	v_fma_f16 v15, v17, s3, v15
	v_add_f16_e32 v13, v38, v16
	v_fma_f16 v29, v31, s4, v29
	v_fma_f16 v15, v31, s4, v15
	v_add_f16_e32 v31, v16, v19
	v_add_f16_e32 v13, v13, v10
	v_fma_f16 v31, v31, -0.5, v38
	v_add_f16_e32 v13, v13, v18
	v_fma_f16 v38, v17, s2, v31
	v_sub_f16_e32 v10, v10, v16
	v_sub_f16_e32 v16, v18, v19
	v_add_f16_e32 v18, v32, v27
	v_add_f16_e32 v13, v13, v19
	v_fma_f16 v38, v28, s6, v38
	v_add_f16_e32 v10, v10, v16
	v_fma_f16 v17, v17, s5, v31
	v_fma_f16 v18, v18, -0.5, v7
	v_sub_f16_e32 v19, v20, v23
	v_fma_f16 v16, v10, s4, v38
	v_fma_f16 v17, v28, s3, v17
	;; [unrolled: 1-line block ×3, first 2 shown]
	v_sub_f16_e32 v31, v21, v22
	v_sub_f16_e32 v38, v30, v32
	;; [unrolled: 1-line block ×3, first 2 shown]
	v_fma_f16 v18, v19, s5, v18
	v_fma_f16 v28, v31, s3, v28
	v_add_f16_e32 v38, v38, v42
	v_fma_f16 v18, v31, s6, v18
	v_fma_f16 v28, v38, s4, v28
	;; [unrolled: 1-line block ×3, first 2 shown]
	v_add_f16_e32 v38, v30, v33
	v_lshrrev_b32_e32 v44, 16, v7
	v_fma_f16 v10, v10, s4, v17
	v_add_f16_e32 v17, v7, v30
	v_fma_f16 v7, v38, -0.5, v7
	v_add_f16_e32 v17, v17, v32
	v_fma_f16 v38, v31, s5, v7
	v_fma_f16 v7, v31, s2, v7
	v_add_f16_e32 v31, v21, v22
	v_add_f16_e32 v17, v17, v27
	v_sub_f16_e32 v42, v32, v30
	v_sub_f16_e32 v43, v27, v33
	v_fma_f16 v31, v31, -0.5, v44
	v_sub_f16_e32 v30, v30, v33
	v_add_f16_e32 v17, v17, v33
	v_fma_f16 v38, v19, s3, v38
	v_add_f16_e32 v42, v42, v43
	v_fma_f16 v7, v19, s6, v7
	v_fma_f16 v33, v30, s5, v31
	v_sub_f16_e32 v27, v32, v27
	v_fma_f16 v38, v42, s4, v38
	v_fma_f16 v7, v42, s4, v7
	;; [unrolled: 1-line block ×3, first 2 shown]
	v_sub_f16_e32 v33, v20, v21
	v_sub_f16_e32 v42, v23, v22
	v_fma_f16 v31, v30, s2, v31
	v_add_f16_e32 v33, v33, v42
	v_fma_f16 v31, v27, s3, v31
	v_add_f16_e32 v19, v44, v20
	v_fma_f16 v32, v33, s4, v32
	v_fma_f16 v31, v33, s4, v31
	v_add_f16_e32 v33, v20, v23
	v_add_f16_e32 v19, v19, v21
	v_fma_f16 v33, v33, -0.5, v44
	v_add_f16_e32 v19, v19, v22
	v_fma_f16 v42, v27, s2, v33
	v_sub_f16_e32 v20, v21, v20
	v_sub_f16_e32 v21, v22, v23
	v_fma_f16 v22, v27, s5, v33
	v_pack_b32_f16 v0, v0, v2
	v_fma_f16 v42, v30, s6, v42
	v_add_f16_e32 v20, v20, v21
	v_fma_f16 v22, v30, s3, v22
	ds_write_b32 v53, v0 offset:4032
	v_pack_b32_f16 v0, v35, v39
	v_fma_f16 v21, v20, s4, v42
	v_fma_f16 v20, v20, s4, v22
	v_pack_b32_f16 v22, v34, v36
	v_pack_b32_f16 v12, v37, v12
	;; [unrolled: 1-line block ×3, first 2 shown]
	ds_write_b32 v53, v0 offset:5376
	v_pack_b32_f16 v0, v8, v13
	v_pack_b32_f16 v1, v1, v10
	v_add_f16_e32 v19, v19, v23
	ds_write_b32 v53, v12 offset:1344
	ds_write_b32 v53, v9 offset:2688
	ds_write2_b32 v53, v22, v0 offset1:112
	ds_write_b32 v53, v1 offset:4480
	v_pack_b32_f16 v1, v11, v15
	ds_write_b32 v53, v1 offset:5824
	v_pack_b32_f16 v1, v17, v19
	v_pack_b32_f16 v0, v14, v29
	;; [unrolled: 1-line block ×3, first 2 shown]
	ds_write_b32 v53, v1 offset:896
	v_pack_b32_f16 v1, v28, v32
	ds_write_b32 v53, v2 offset:3136
	ds_write2_b32 v4, v0, v1 offset0:64 offset1:176
	v_pack_b32_f16 v0, v38, v21
	ds_write_b32 v53, v0 offset:3584
	v_pack_b32_f16 v0, v7, v20
	ds_write_b32 v53, v0 offset:4928
	;; [unrolled: 2-line block ×3, first 2 shown]
	s_waitcnt lgkmcnt(0)
	s_barrier
	ds_read2_b32 v[7:8], v53 offset1:112
	s_mov_b32 s6, 0x13813814
	s_mov_b32 s7, 0x3f438138
	v_mad_u64_u32 v[9:10], s[2:3], s10, v26, 0
	s_waitcnt lgkmcnt(0)
	v_lshrrev_b32_e32 v12, 16, v7
	v_mul_f16_sdwa v0, v68, v12 dst_sel:DWORD dst_unused:UNUSED_PAD src0_sel:WORD_1 src1_sel:DWORD
	v_fma_f16 v0, v68, v7, v0
	v_cvt_f32_f16_e32 v0, v0
	s_movk_i32 s17, 0x1ff
	v_mov_b32_e32 v2, v10
	v_mad_u64_u32 v[10:11], s[2:3], s11, v26, v[2:3]
	v_cvt_f64_f32_e32 v[0:1], v0
	s_movk_i32 s14, 0xffe
	v_mul_f16_sdwa v7, v68, v7 dst_sel:DWORD dst_unused:UNUSED_PAD src0_sel:WORD_1 src1_sel:DWORD
	v_fma_f16 v7, v68, v12, -v7
	v_mul_f64 v[0:1], v[0:1], s[6:7]
	v_cvt_f32_f16_e32 v7, v7
	s_movk_i32 s15, 0x40f
	s_mov_b32 s16, 0x8000
	v_lshlrev_b64 v[9:10], 2, v[9:10]
	s_movk_i32 s18, 0x1000
	v_and_or_b32 v0, v1, s17, v0
	v_cmp_ne_u32_e32 vcc, 0, v0
	v_cndmask_b32_e64 v0, 0, 1, vcc
	v_lshrrev_b32_e32 v2, 8, v1
	v_bfe_u32 v11, v1, 20, 11
	v_and_or_b32 v0, v2, s14, v0
	v_sub_u32_e32 v13, 0x3f1, v11
	v_or_b32_e32 v2, 0x1000, v0
	v_med3_i32 v13, v13, 0, 13
	v_lshrrev_b32_e32 v14, v13, v2
	v_lshlrev_b32_e32 v13, v13, v14
	v_cmp_ne_u32_e32 vcc, v13, v2
	v_cndmask_b32_e64 v2, 0, 1, vcc
	v_add_u32_e32 v13, 0xfffffc10, v11
	v_or_b32_e32 v2, v14, v2
	v_lshl_or_b32 v11, v13, 12, v0
	v_cmp_gt_i32_e32 vcc, 1, v13
	v_cndmask_b32_e32 v2, v11, v2, vcc
	v_and_b32_e32 v11, 7, v2
	v_cmp_lt_i32_e32 vcc, 5, v11
	v_cmp_eq_u32_e64 s[2:3], 3, v11
	v_cvt_f64_f32_e32 v[11:12], v7
	v_lshrrev_b32_e32 v2, 2, v2
	s_or_b64 vcc, s[2:3], vcc
	v_addc_co_u32_e32 v14, vcc, 0, v2, vcc
	v_mul_f64 v[11:12], v[11:12], s[6:7]
	v_mov_b32_e32 v2, 0x7c00
	v_cmp_gt_i32_e32 vcc, 31, v13
	v_cndmask_b32_e32 v7, v2, v14, vcc
	v_cmp_ne_u32_e32 vcc, 0, v0
	v_cndmask_b32_e64 v0, 0, 1, vcc
	v_lshl_or_b32 v0, v0, 9, v2
	v_cmp_eq_u32_e32 vcc, s15, v13
	v_cndmask_b32_e32 v0, v7, v0, vcc
	v_lshrrev_b32_e32 v1, 16, v1
	v_and_or_b32 v7, v1, s16, v0
	v_and_or_b32 v0, v12, s17, v11
	v_cmp_ne_u32_e32 vcc, 0, v0
	v_cndmask_b32_e64 v0, 0, 1, vcc
	v_lshrrev_b32_e32 v1, 8, v12
	v_bfe_u32 v11, v12, 20, 11
	v_and_or_b32 v0, v1, s14, v0
	v_sub_u32_e32 v13, 0x3f1, v11
	v_or_b32_e32 v1, 0x1000, v0
	v_med3_i32 v13, v13, 0, 13
	v_lshrrev_b32_e32 v14, v13, v1
	v_lshlrev_b32_e32 v13, v13, v14
	v_cmp_ne_u32_e32 vcc, v13, v1
	v_cndmask_b32_e64 v1, 0, 1, vcc
	v_add_u32_e32 v11, 0xfffffc10, v11
	v_or_b32_e32 v1, v14, v1
	v_lshl_or_b32 v13, v11, 12, v0
	v_cmp_gt_i32_e32 vcc, 1, v11
	v_cndmask_b32_e32 v1, v13, v1, vcc
	v_and_b32_e32 v13, 7, v1
	v_cmp_lt_i32_e32 vcc, 5, v13
	v_cmp_eq_u32_e64 s[2:3], 3, v13
	v_lshrrev_b32_e32 v1, 2, v1
	s_or_b64 vcc, s[2:3], vcc
	v_addc_co_u32_e32 v1, vcc, 0, v1, vcc
	v_cmp_gt_i32_e32 vcc, 31, v11
	v_cndmask_b32_e32 v1, v2, v1, vcc
	v_cmp_ne_u32_e32 vcc, 0, v0
	v_cndmask_b32_e64 v0, 0, 1, vcc
	v_lshl_or_b32 v0, v0, 9, v2
	v_cmp_eq_u32_e32 vcc, s15, v11
	v_mad_u64_u32 v[13:14], s[2:3], s8, v66, 0
	v_cndmask_b32_e32 v15, v1, v0, vcc
	ds_read2_b32 v[0:1], v5 offset0:32 offset1:200
	v_mov_b32_e32 v5, v14
	v_lshrrev_b32_e32 v16, 16, v12
	v_mad_u64_u32 v[11:12], s[2:3], s9, v66, v[5:6]
	s_waitcnt lgkmcnt(0)
	v_lshrrev_b32_e32 v5, 16, v1
	v_mul_f16_sdwa v12, v67, v5 dst_sel:DWORD dst_unused:UNUSED_PAD src0_sel:WORD_1 src1_sel:DWORD
	v_fma_f16 v12, v67, v1, v12
	v_cvt_f32_f16_e32 v12, v12
	v_mov_b32_e32 v14, v11
	v_and_or_b32 v15, v16, s16, v15
	v_and_b32_e32 v7, 0xffff, v7
	v_cvt_f64_f32_e32 v[11:12], v12
	v_lshl_or_b32 v7, v15, 16, v7
	v_mov_b32_e32 v15, s13
	v_add_co_u32_e32 v16, vcc, s12, v9
	v_mul_f64 v[11:12], v[11:12], s[6:7]
	v_addc_co_u32_e32 v15, vcc, v15, v10, vcc
	v_lshlrev_b64 v[9:10], 2, v[13:14]
	v_mul_f16_sdwa v1, v67, v1 dst_sel:DWORD dst_unused:UNUSED_PAD src0_sel:WORD_1 src1_sel:DWORD
	v_add_co_u32_e32 v9, vcc, v16, v9
	v_addc_co_u32_e32 v10, vcc, v15, v10, vcc
	global_store_dword v[9:10], v7, off
	v_and_or_b32 v7, v12, s17, v11
	v_cmp_ne_u32_e32 vcc, 0, v7
	v_cndmask_b32_e64 v7, 0, 1, vcc
	v_lshrrev_b32_e32 v11, 8, v12
	v_bfe_u32 v13, v12, 20, 11
	v_and_or_b32 v7, v11, s14, v7
	v_sub_u32_e32 v14, 0x3f1, v13
	v_or_b32_e32 v11, 0x1000, v7
	v_med3_i32 v14, v14, 0, 13
	v_lshrrev_b32_e32 v15, v14, v11
	v_lshlrev_b32_e32 v14, v14, v15
	v_cmp_ne_u32_e32 vcc, v14, v11
	v_cndmask_b32_e64 v11, 0, 1, vcc
	v_fma_f16 v1, v67, v5, -v1
	v_or_b32_e32 v11, v15, v11
	v_add_u32_e32 v15, 0xfffffc10, v13
	v_cvt_f32_f16_e32 v1, v1
	v_lshl_or_b32 v13, v15, 12, v7
	v_cmp_gt_i32_e32 vcc, 1, v15
	v_cndmask_b32_e32 v11, v13, v11, vcc
	v_and_b32_e32 v13, 7, v11
	v_cmp_lt_i32_e32 vcc, 5, v13
	v_cmp_eq_u32_e64 s[2:3], 3, v13
	v_cvt_f64_f32_e32 v[13:14], v1
	v_lshrrev_b32_e32 v5, 2, v11
	s_or_b64 vcc, s[2:3], vcc
	v_addc_co_u32_e32 v1, vcc, 0, v5, vcc
	v_mul_f64 v[13:14], v[13:14], s[6:7]
	v_cmp_gt_i32_e32 vcc, 31, v15
	v_cndmask_b32_e32 v1, v2, v1, vcc
	v_cmp_ne_u32_e32 vcc, 0, v7
	v_cndmask_b32_e64 v5, 0, 1, vcc
	v_lshl_or_b32 v5, v5, 9, v2
	v_cmp_eq_u32_e32 vcc, s15, v15
	v_cndmask_b32_e32 v1, v1, v5, vcc
	v_lshrrev_b32_e32 v5, 16, v12
	v_and_or_b32 v1, v5, s16, v1
	v_and_or_b32 v5, v14, s17, v13
	v_cmp_ne_u32_e32 vcc, 0, v5
	v_cndmask_b32_e64 v5, 0, 1, vcc
	v_lshrrev_b32_e32 v7, 8, v14
	v_bfe_u32 v11, v14, 20, 11
	v_and_or_b32 v5, v7, s14, v5
	v_sub_u32_e32 v12, 0x3f1, v11
	v_or_b32_e32 v7, 0x1000, v5
	v_med3_i32 v12, v12, 0, 13
	v_lshrrev_b32_e32 v13, v12, v7
	v_lshlrev_b32_e32 v12, v12, v13
	v_cmp_ne_u32_e32 vcc, v12, v7
	v_cndmask_b32_e64 v7, 0, 1, vcc
	v_add_u32_e32 v11, 0xfffffc10, v11
	v_or_b32_e32 v7, v13, v7
	v_lshl_or_b32 v12, v11, 12, v5
	v_cmp_gt_i32_e32 vcc, 1, v11
	v_cndmask_b32_e32 v7, v12, v7, vcc
	v_and_b32_e32 v12, 7, v7
	v_cmp_lt_i32_e32 vcc, 5, v12
	v_cmp_eq_u32_e64 s[2:3], 3, v12
	v_lshrrev_b32_e32 v7, 2, v7
	s_or_b64 vcc, s[2:3], vcc
	v_addc_co_u32_e32 v7, vcc, 0, v7, vcc
	v_cmp_gt_i32_e32 vcc, 31, v11
	v_cndmask_b32_e32 v7, v2, v7, vcc
	v_cmp_ne_u32_e32 vcc, 0, v5
	v_cndmask_b32_e64 v5, 0, 1, vcc
	v_lshl_or_b32 v5, v5, 9, v2
	v_cmp_eq_u32_e32 vcc, s15, v11
	v_cndmask_b32_e32 v5, v7, v5, vcc
	v_lshrrev_b32_e32 v7, 16, v14
	v_and_or_b32 v5, v7, s16, v5
	v_lshrrev_b32_e32 v7, 16, v8
	v_mul_f16_sdwa v11, v65, v7 dst_sel:DWORD dst_unused:UNUSED_PAD src0_sel:WORD_1 src1_sel:DWORD
	v_fma_f16 v11, v65, v8, v11
	v_cvt_f32_f16_e32 v11, v11
	s_mul_i32 s2, s9, 0x348
	s_mul_hi_u32 s3, s8, 0x348
	s_add_i32 s3, s3, s2
	v_cvt_f64_f32_e32 v[11:12], v11
	s_mul_i32 s2, s8, 0x348
	v_and_b32_e32 v1, 0xffff, v1
	s_lshl_b64 s[10:11], s[2:3], 2
	v_mul_f64 v[11:12], v[11:12], s[6:7]
	v_lshl_or_b32 v5, v5, 16, v1
	v_mov_b32_e32 v1, s11
	v_add_co_u32_e32 v9, vcc, s10, v9
	v_addc_co_u32_e32 v10, vcc, v10, v1, vcc
	global_store_dword v[9:10], v5, off
	v_and_or_b32 v5, v12, s17, v11
	v_mul_f16_sdwa v8, v65, v8 dst_sel:DWORD dst_unused:UNUSED_PAD src0_sel:WORD_1 src1_sel:DWORD
	v_cmp_ne_u32_e32 vcc, 0, v5
	v_fma_f16 v7, v65, v7, -v8
	v_cndmask_b32_e64 v5, 0, 1, vcc
	v_lshrrev_b32_e32 v11, 8, v12
	v_bfe_u32 v13, v12, 20, 11
	v_cvt_f32_f16_e32 v7, v7
	v_and_or_b32 v5, v11, s14, v5
	v_sub_u32_e32 v14, 0x3f1, v13
	v_or_b32_e32 v11, 0x1000, v5
	v_med3_i32 v14, v14, 0, 13
	v_lshrrev_b32_e32 v15, v14, v11
	v_lshlrev_b32_e32 v14, v14, v15
	v_cvt_f64_f32_e32 v[7:8], v7
	v_cmp_ne_u32_e32 vcc, v14, v11
	v_cndmask_b32_e64 v11, 0, 1, vcc
	v_add_u32_e32 v13, 0xfffffc10, v13
	v_or_b32_e32 v11, v15, v11
	v_lshl_or_b32 v14, v13, 12, v5
	v_cmp_gt_i32_e32 vcc, 1, v13
	v_cndmask_b32_e32 v11, v14, v11, vcc
	v_mul_f64 v[7:8], v[7:8], s[6:7]
	v_and_b32_e32 v14, 7, v11
	v_cmp_lt_i32_e32 vcc, 5, v14
	v_cmp_eq_u32_e64 s[2:3], 3, v14
	v_lshrrev_b32_e32 v11, 2, v11
	s_or_b64 vcc, s[2:3], vcc
	v_addc_co_u32_e32 v11, vcc, 0, v11, vcc
	v_cmp_gt_i32_e32 vcc, 31, v13
	v_cndmask_b32_e32 v11, v2, v11, vcc
	v_cmp_ne_u32_e32 vcc, 0, v5
	v_cndmask_b32_e64 v5, 0, 1, vcc
	v_lshl_or_b32 v5, v5, 9, v2
	v_cmp_eq_u32_e32 vcc, s15, v13
	v_and_or_b32 v7, v8, s17, v7
	v_cndmask_b32_e32 v5, v11, v5, vcc
	v_lshrrev_b32_e32 v11, 16, v12
	v_cmp_ne_u32_e32 vcc, 0, v7
	v_and_or_b32 v5, v11, s16, v5
	v_cndmask_b32_e64 v7, 0, 1, vcc
	v_lshrrev_b32_e32 v11, 8, v8
	v_bfe_u32 v12, v8, 20, 11
	v_and_or_b32 v7, v11, s14, v7
	v_sub_u32_e32 v13, 0x3f1, v12
	v_or_b32_e32 v11, 0x1000, v7
	v_med3_i32 v13, v13, 0, 13
	v_lshrrev_b32_e32 v14, v13, v11
	v_lshlrev_b32_e32 v13, v13, v14
	v_cmp_ne_u32_e32 vcc, v13, v11
	v_cndmask_b32_e64 v11, 0, 1, vcc
	v_add_u32_e32 v13, 0xfffffc10, v12
	v_or_b32_e32 v11, v14, v11
	v_lshl_or_b32 v12, v13, 12, v7
	v_cmp_gt_i32_e32 vcc, 1, v13
	v_cndmask_b32_e32 v11, v12, v11, vcc
	v_and_b32_e32 v12, 7, v11
	v_cmp_lt_i32_e32 vcc, 5, v12
	v_cmp_eq_u32_e64 s[2:3], 3, v12
	v_lshrrev_b32_e32 v11, 2, v11
	s_or_b64 vcc, s[2:3], vcc
	v_addc_co_u32_e32 v11, vcc, 0, v11, vcc
	v_cmp_gt_i32_e32 vcc, 31, v13
	v_cndmask_b32_e32 v14, v2, v11, vcc
	v_add_u32_e32 v11, 0xe00, v53
	ds_read2_b32 v[11:12], v11 offset0:56 offset1:168
	v_cmp_ne_u32_e32 vcc, 0, v7
	v_cndmask_b32_e64 v7, 0, 1, vcc
	v_lshl_or_b32 v7, v7, 9, v2
	v_cmp_eq_u32_e32 vcc, s15, v13
	v_cndmask_b32_e32 v7, v14, v7, vcc
	v_lshrrev_b32_e32 v8, 16, v8
	s_waitcnt lgkmcnt(0)
	v_lshrrev_b32_e32 v14, 16, v11
	v_and_or_b32 v13, v8, s16, v7
	v_mul_f16_sdwa v7, v64, v14 dst_sel:DWORD dst_unused:UNUSED_PAD src0_sel:WORD_1 src1_sel:DWORD
	v_fma_f16 v7, v64, v11, v7
	v_cvt_f32_f16_e32 v7, v7
	s_mul_hi_u32 s3, s8, 0xfffffd28
	s_mul_i32 s2, s9, 0xfffffd28
	s_sub_i32 s3, s3, s8
	v_cvt_f64_f32_e32 v[7:8], v7
	s_add_i32 s3, s3, s2
	s_mul_i32 s2, s8, 0xfffffd28
	v_and_b32_e32 v5, 0xffff, v5
	v_mul_f64 v[7:8], v[7:8], s[6:7]
	s_lshl_b64 s[4:5], s[2:3], 2
	v_lshl_or_b32 v13, v13, 16, v5
	v_mov_b32_e32 v5, s5
	v_add_co_u32_e32 v9, vcc, s4, v9
	v_addc_co_u32_e32 v10, vcc, v10, v5, vcc
	v_and_or_b32 v7, v8, s17, v7
	v_cmp_ne_u32_e32 vcc, 0, v7
	global_store_dword v[9:10], v13, off
	v_cndmask_b32_e64 v7, 0, 1, vcc
	v_lshrrev_b32_e32 v13, 8, v8
	v_bfe_u32 v15, v8, 20, 11
	v_and_or_b32 v7, v13, s14, v7
	v_sub_u32_e32 v16, 0x3f1, v15
	v_or_b32_e32 v13, 0x1000, v7
	v_med3_i32 v16, v16, 0, 13
	v_lshrrev_b32_e32 v17, v16, v13
	v_lshlrev_b32_e32 v16, v16, v17
	v_mul_f16_sdwa v11, v64, v11 dst_sel:DWORD dst_unused:UNUSED_PAD src0_sel:WORD_1 src1_sel:DWORD
	v_cmp_ne_u32_e32 vcc, v16, v13
	v_fma_f16 v11, v64, v14, -v11
	v_cndmask_b32_e64 v13, 0, 1, vcc
	v_add_u32_e32 v15, 0xfffffc10, v15
	v_cvt_f32_f16_e32 v11, v11
	v_or_b32_e32 v13, v17, v13
	v_lshl_or_b32 v16, v15, 12, v7
	v_cmp_gt_i32_e32 vcc, 1, v15
	v_cndmask_b32_e32 v13, v16, v13, vcc
	v_and_b32_e32 v16, 7, v13
	v_cmp_lt_i32_e32 vcc, 5, v16
	v_cmp_eq_u32_e64 s[2:3], 3, v16
	v_lshrrev_b32_e32 v16, 2, v13
	v_cvt_f64_f32_e32 v[13:14], v11
	s_or_b64 vcc, s[2:3], vcc
	v_addc_co_u32_e32 v11, vcc, 0, v16, vcc
	v_mul_f64 v[13:14], v[13:14], s[6:7]
	v_cmp_gt_i32_e32 vcc, 31, v15
	v_cndmask_b32_e32 v11, v2, v11, vcc
	v_cmp_ne_u32_e32 vcc, 0, v7
	v_cndmask_b32_e64 v7, 0, 1, vcc
	v_lshl_or_b32 v7, v7, 9, v2
	v_cmp_eq_u32_e32 vcc, s15, v15
	v_cndmask_b32_e32 v7, v11, v7, vcc
	v_lshrrev_b32_e32 v8, 16, v8
	v_and_or_b32 v8, v8, s16, v7
	v_and_or_b32 v7, v14, s17, v13
	v_cmp_ne_u32_e32 vcc, 0, v7
	v_cndmask_b32_e64 v7, 0, 1, vcc
	v_lshrrev_b32_e32 v11, 8, v14
	v_bfe_u32 v13, v14, 20, 11
	v_and_or_b32 v11, v11, s14, v7
	v_sub_u32_e32 v15, 0x3f1, v13
	v_or_b32_e32 v7, 0x1000, v11
	v_med3_i32 v15, v15, 0, 13
	v_lshrrev_b32_e32 v16, v15, v7
	v_lshlrev_b32_e32 v15, v15, v16
	v_cmp_ne_u32_e32 vcc, v15, v7
	v_cndmask_b32_e64 v7, 0, 1, vcc
	v_add_u32_e32 v13, 0xfffffc10, v13
	v_or_b32_e32 v7, v16, v7
	v_lshl_or_b32 v15, v13, 12, v11
	v_cmp_gt_i32_e32 vcc, 1, v13
	v_cndmask_b32_e32 v7, v15, v7, vcc
	v_and_b32_e32 v15, 7, v7
	v_cmp_lt_i32_e32 vcc, 5, v15
	v_cmp_eq_u32_e64 s[2:3], 3, v15
	v_lshrrev_b32_e32 v15, 2, v7
	ds_read2_b32 v[6:7], v6 offset0:96 offset1:208
	s_or_b64 vcc, s[2:3], vcc
	v_addc_co_u32_e32 v15, vcc, 0, v15, vcc
	v_cmp_gt_i32_e32 vcc, 31, v13
	s_waitcnt lgkmcnt(0)
	v_lshrrev_b32_e32 v18, 16, v6
	v_cndmask_b32_e32 v17, v2, v15, vcc
	v_mul_f16_sdwa v15, v63, v18 dst_sel:DWORD dst_unused:UNUSED_PAD src0_sel:WORD_1 src1_sel:DWORD
	v_fma_f16 v15, v63, v6, v15
	v_cvt_f32_f16_e32 v15, v15
	v_cmp_ne_u32_e32 vcc, 0, v11
	v_cndmask_b32_e64 v11, 0, 1, vcc
	v_lshl_or_b32 v11, v11, 9, v2
	v_cvt_f64_f32_e32 v[15:16], v15
	v_cmp_eq_u32_e32 vcc, s15, v13
	v_cndmask_b32_e32 v11, v17, v11, vcc
	v_lshrrev_b32_e32 v13, 16, v14
	v_and_or_b32 v11, v13, s16, v11
	v_mul_f64 v[13:14], v[15:16], s[6:7]
	v_and_b32_e32 v8, 0xffff, v8
	v_lshl_or_b32 v11, v11, 16, v8
	v_add_co_u32_e32 v8, vcc, s10, v9
	v_addc_co_u32_e32 v9, vcc, v10, v1, vcc
	global_store_dword v[8:9], v11, off
	v_and_or_b32 v10, v14, s17, v13
	v_cmp_ne_u32_e32 vcc, 0, v10
	v_cndmask_b32_e64 v10, 0, 1, vcc
	v_lshrrev_b32_e32 v11, 8, v14
	v_and_or_b32 v13, v11, s14, v10
	v_bfe_u32 v11, v14, 20, 11
	v_sub_u32_e32 v15, 0x3f1, v11
	v_or_b32_e32 v10, 0x1000, v13
	v_med3_i32 v15, v15, 0, 13
	v_lshrrev_b32_e32 v16, v15, v10
	v_lshlrev_b32_e32 v15, v15, v16
	v_mul_f16_sdwa v6, v63, v6 dst_sel:DWORD dst_unused:UNUSED_PAD src0_sel:WORD_1 src1_sel:DWORD
	v_cmp_ne_u32_e32 vcc, v15, v10
	v_fma_f16 v6, v63, v18, -v6
	v_cndmask_b32_e64 v10, 0, 1, vcc
	v_add_u32_e32 v15, 0xfffffc10, v11
	v_cvt_f32_f16_e32 v6, v6
	v_or_b32_e32 v10, v16, v10
	v_lshl_or_b32 v11, v15, 12, v13
	v_cmp_gt_i32_e32 vcc, 1, v15
	v_cndmask_b32_e32 v10, v11, v10, vcc
	v_and_b32_e32 v11, 7, v10
	v_cmp_lt_i32_e32 vcc, 5, v11
	v_cmp_eq_u32_e64 s[2:3], 3, v11
	v_lshrrev_b32_e32 v16, 2, v10
	v_cvt_f64_f32_e32 v[10:11], v6
	s_or_b64 vcc, s[2:3], vcc
	v_addc_co_u32_e32 v6, vcc, 0, v16, vcc
	v_mul_f64 v[10:11], v[10:11], s[6:7]
	v_cmp_gt_i32_e32 vcc, 31, v15
	v_cndmask_b32_e32 v6, v2, v6, vcc
	v_cmp_ne_u32_e32 vcc, 0, v13
	v_cndmask_b32_e64 v13, 0, 1, vcc
	v_lshl_or_b32 v13, v13, 9, v2
	v_cmp_eq_u32_e32 vcc, s15, v15
	v_cndmask_b32_e32 v6, v6, v13, vcc
	v_and_or_b32 v10, v11, s17, v10
	v_lshrrev_b32_e32 v13, 16, v14
	v_cmp_ne_u32_e32 vcc, 0, v10
	v_and_or_b32 v6, v13, s16, v6
	v_cndmask_b32_e64 v10, 0, 1, vcc
	v_lshrrev_b32_e32 v13, 8, v11
	v_bfe_u32 v14, v11, 20, 11
	v_and_or_b32 v10, v13, s14, v10
	v_sub_u32_e32 v15, 0x3f1, v14
	v_or_b32_e32 v13, 0x1000, v10
	v_med3_i32 v15, v15, 0, 13
	v_lshrrev_b32_e32 v16, v15, v13
	v_lshlrev_b32_e32 v15, v15, v16
	v_cmp_ne_u32_e32 vcc, v15, v13
	v_cndmask_b32_e64 v13, 0, 1, vcc
	v_add_u32_e32 v15, 0xfffffc10, v14
	v_or_b32_e32 v13, v16, v13
	v_lshl_or_b32 v14, v15, 12, v10
	v_cmp_gt_i32_e32 vcc, 1, v15
	v_cndmask_b32_e32 v13, v14, v13, vcc
	v_and_b32_e32 v14, 7, v13
	v_cmp_lt_i32_e32 vcc, 5, v14
	v_cmp_eq_u32_e64 s[2:3], 3, v14
	v_lshrrev_b32_e32 v13, 2, v13
	s_or_b64 vcc, s[2:3], vcc
	v_addc_co_u32_e32 v13, vcc, 0, v13, vcc
	v_cmp_gt_i32_e32 vcc, 31, v15
	v_lshrrev_b32_e32 v17, 16, v12
	v_cndmask_b32_e32 v16, v2, v13, vcc
	v_mul_f16_sdwa v13, v62, v17 dst_sel:DWORD dst_unused:UNUSED_PAD src0_sel:WORD_1 src1_sel:DWORD
	v_fma_f16 v13, v62, v12, v13
	v_cvt_f32_f16_e32 v13, v13
	v_cmp_ne_u32_e32 vcc, 0, v10
	v_cndmask_b32_e64 v10, 0, 1, vcc
	v_lshl_or_b32 v10, v10, 9, v2
	v_cvt_f64_f32_e32 v[13:14], v13
	v_cmp_eq_u32_e32 vcc, s15, v15
	v_cndmask_b32_e32 v10, v16, v10, vcc
	v_lshrrev_b32_e32 v11, 16, v11
	v_and_or_b32 v15, v11, s16, v10
	v_mul_f64 v[10:11], v[13:14], s[6:7]
	v_and_b32_e32 v6, 0xffff, v6
	v_add_co_u32_e32 v8, vcc, s4, v8
	v_lshl_or_b32 v6, v15, 16, v6
	v_addc_co_u32_e32 v9, vcc, v9, v5, vcc
	global_store_dword v[8:9], v6, off
	v_and_or_b32 v6, v11, s17, v10
	v_cmp_ne_u32_e32 vcc, 0, v6
	v_cndmask_b32_e64 v6, 0, 1, vcc
	v_lshrrev_b32_e32 v10, 8, v11
	v_bfe_u32 v13, v11, 20, 11
	v_and_or_b32 v6, v10, s14, v6
	v_sub_u32_e32 v14, 0x3f1, v13
	v_or_b32_e32 v10, 0x1000, v6
	v_med3_i32 v14, v14, 0, 13
	v_lshrrev_b32_e32 v15, v14, v10
	v_lshlrev_b32_e32 v14, v14, v15
	v_mul_f16_sdwa v12, v62, v12 dst_sel:DWORD dst_unused:UNUSED_PAD src0_sel:WORD_1 src1_sel:DWORD
	v_cmp_ne_u32_e32 vcc, v14, v10
	v_fma_f16 v12, v62, v17, -v12
	v_cndmask_b32_e64 v10, 0, 1, vcc
	v_add_u32_e32 v14, 0xfffffc10, v13
	v_cvt_f32_f16_e32 v12, v12
	v_or_b32_e32 v10, v15, v10
	v_lshl_or_b32 v13, v14, 12, v6
	v_cmp_gt_i32_e32 vcc, 1, v14
	v_cndmask_b32_e32 v10, v13, v10, vcc
	v_and_b32_e32 v13, 7, v10
	v_cmp_lt_i32_e32 vcc, 5, v13
	v_cmp_eq_u32_e64 s[2:3], 3, v13
	v_cvt_f64_f32_e32 v[12:13], v12
	v_lshrrev_b32_e32 v10, 2, v10
	s_or_b64 vcc, s[2:3], vcc
	v_addc_co_u32_e32 v10, vcc, 0, v10, vcc
	v_mul_f64 v[12:13], v[12:13], s[6:7]
	v_cmp_gt_i32_e32 vcc, 31, v14
	v_cndmask_b32_e32 v10, v2, v10, vcc
	v_cmp_ne_u32_e32 vcc, 0, v6
	v_cndmask_b32_e64 v6, 0, 1, vcc
	v_lshl_or_b32 v6, v6, 9, v2
	v_cmp_eq_u32_e32 vcc, s15, v14
	v_cndmask_b32_e32 v6, v10, v6, vcc
	v_lshrrev_b32_e32 v10, 16, v11
	v_and_or_b32 v6, v10, s16, v6
	v_and_or_b32 v10, v13, s17, v12
	v_cmp_ne_u32_e32 vcc, 0, v10
	v_cndmask_b32_e64 v10, 0, 1, vcc
	v_lshrrev_b32_e32 v11, 8, v13
	v_bfe_u32 v12, v13, 20, 11
	v_and_or_b32 v10, v11, s14, v10
	v_sub_u32_e32 v14, 0x3f1, v12
	v_or_b32_e32 v11, 0x1000, v10
	v_med3_i32 v14, v14, 0, 13
	v_lshrrev_b32_e32 v15, v14, v11
	v_lshlrev_b32_e32 v14, v14, v15
	v_cmp_ne_u32_e32 vcc, v14, v11
	v_cndmask_b32_e64 v11, 0, 1, vcc
	v_add_u32_e32 v12, 0xfffffc10, v12
	v_or_b32_e32 v11, v15, v11
	v_lshl_or_b32 v14, v12, 12, v10
	v_cmp_gt_i32_e32 vcc, 1, v12
	v_cndmask_b32_e32 v11, v14, v11, vcc
	v_and_b32_e32 v14, 7, v11
	v_cmp_lt_i32_e32 vcc, 5, v14
	v_cmp_eq_u32_e64 s[2:3], 3, v14
	v_lshrrev_b32_e32 v11, 2, v11
	s_or_b64 vcc, s[2:3], vcc
	v_addc_co_u32_e32 v11, vcc, 0, v11, vcc
	v_cmp_gt_i32_e32 vcc, 31, v12
	v_lshrrev_b32_e32 v15, 16, v7
	v_cndmask_b32_e32 v14, v2, v11, vcc
	v_mul_f16_sdwa v11, v61, v15 dst_sel:DWORD dst_unused:UNUSED_PAD src0_sel:WORD_1 src1_sel:DWORD
	v_fma_f16 v11, v61, v7, v11
	v_cvt_f32_f16_e32 v11, v11
	v_cmp_ne_u32_e32 vcc, 0, v10
	v_cndmask_b32_e64 v10, 0, 1, vcc
	v_lshl_or_b32 v16, v10, 9, v2
	v_cvt_f64_f32_e32 v[10:11], v11
	v_cmp_eq_u32_e32 vcc, s15, v12
	v_cndmask_b32_e32 v12, v14, v16, vcc
	v_lshrrev_b32_e32 v13, 16, v13
	v_mul_f64 v[10:11], v[10:11], s[6:7]
	v_and_or_b32 v12, v13, s16, v12
	v_and_b32_e32 v6, 0xffff, v6
	v_add_co_u32_e32 v8, vcc, s10, v8
	v_lshl_or_b32 v6, v12, 16, v6
	v_addc_co_u32_e32 v9, vcc, v9, v1, vcc
	global_store_dword v[8:9], v6, off
	v_and_or_b32 v6, v11, s17, v10
	v_cmp_ne_u32_e32 vcc, 0, v6
	v_cndmask_b32_e64 v6, 0, 1, vcc
	v_lshrrev_b32_e32 v10, 8, v11
	v_bfe_u32 v12, v11, 20, 11
	v_and_or_b32 v10, v10, s14, v6
	v_sub_u32_e32 v13, 0x3f1, v12
	v_or_b32_e32 v6, 0x1000, v10
	v_med3_i32 v13, v13, 0, 13
	v_lshrrev_b32_e32 v14, v13, v6
	v_lshlrev_b32_e32 v13, v13, v14
	v_mul_f16_sdwa v7, v61, v7 dst_sel:DWORD dst_unused:UNUSED_PAD src0_sel:WORD_1 src1_sel:DWORD
	v_cmp_ne_u32_e32 vcc, v13, v6
	v_fma_f16 v7, v61, v15, -v7
	v_cndmask_b32_e64 v6, 0, 1, vcc
	v_add_u32_e32 v12, 0xfffffc10, v12
	v_cvt_f32_f16_e32 v7, v7
	v_or_b32_e32 v6, v14, v6
	v_lshl_or_b32 v13, v12, 12, v10
	v_cmp_gt_i32_e32 vcc, 1, v12
	v_cndmask_b32_e32 v6, v13, v6, vcc
	v_and_b32_e32 v13, 7, v6
	v_cmp_lt_i32_e32 vcc, 5, v13
	v_cmp_eq_u32_e64 s[2:3], 3, v13
	v_lshrrev_b32_e32 v13, 2, v6
	v_cvt_f64_f32_e32 v[6:7], v7
	s_or_b64 vcc, s[2:3], vcc
	v_addc_co_u32_e32 v13, vcc, 0, v13, vcc
	v_mul_f64 v[6:7], v[6:7], s[6:7]
	v_cmp_gt_i32_e32 vcc, 31, v12
	v_cndmask_b32_e32 v13, v2, v13, vcc
	v_cmp_ne_u32_e32 vcc, 0, v10
	v_cndmask_b32_e64 v10, 0, 1, vcc
	v_lshl_or_b32 v10, v10, 9, v2
	v_cmp_eq_u32_e32 vcc, s15, v12
	v_cndmask_b32_e32 v10, v13, v10, vcc
	v_and_or_b32 v6, v7, s17, v6
	v_lshrrev_b32_e32 v11, 16, v11
	v_cmp_ne_u32_e32 vcc, 0, v6
	v_and_or_b32 v14, v11, s16, v10
	v_cndmask_b32_e64 v6, 0, 1, vcc
	v_lshrrev_b32_e32 v10, 8, v7
	v_bfe_u32 v11, v7, 20, 11
	v_and_or_b32 v6, v10, s14, v6
	v_sub_u32_e32 v12, 0x3f1, v11
	v_or_b32_e32 v10, 0x1000, v6
	v_med3_i32 v12, v12, 0, 13
	v_lshrrev_b32_e32 v13, v12, v10
	v_lshlrev_b32_e32 v12, v12, v13
	v_cmp_ne_u32_e32 vcc, v12, v10
	v_cndmask_b32_e64 v10, 0, 1, vcc
	v_add_u32_e32 v15, 0xfffffc10, v11
	v_or_b32_e32 v10, v13, v10
	v_lshl_or_b32 v11, v15, 12, v6
	v_cmp_gt_i32_e32 vcc, 1, v15
	v_cndmask_b32_e32 v10, v11, v10, vcc
	v_and_b32_e32 v11, 7, v10
	v_lshrrev_b32_e32 v12, 2, v10
	v_add_u32_e32 v10, 0x1200, v53
	v_cmp_lt_i32_e32 vcc, 5, v11
	v_cmp_eq_u32_e64 s[2:3], 3, v11
	ds_read2_b32 v[10:11], v10 offset0:24 offset1:136
	s_or_b64 vcc, s[2:3], vcc
	v_addc_co_u32_e32 v12, vcc, 0, v12, vcc
	v_cmp_gt_i32_e32 vcc, 31, v15
	s_waitcnt lgkmcnt(0)
	v_lshrrev_b32_e32 v17, 16, v10
	v_cndmask_b32_e32 v16, v2, v12, vcc
	v_mul_f16_sdwa v12, v60, v17 dst_sel:DWORD dst_unused:UNUSED_PAD src0_sel:WORD_1 src1_sel:DWORD
	v_fma_f16 v12, v60, v10, v12
	v_cvt_f32_f16_e32 v12, v12
	v_cmp_ne_u32_e32 vcc, 0, v6
	v_cndmask_b32_e64 v6, 0, 1, vcc
	v_lshl_or_b32 v6, v6, 9, v2
	v_cvt_f64_f32_e32 v[12:13], v12
	v_cmp_eq_u32_e32 vcc, s15, v15
	v_cndmask_b32_e32 v6, v16, v6, vcc
	v_lshrrev_b32_e32 v7, 16, v7
	v_and_or_b32 v15, v7, s16, v6
	v_mul_f64 v[6:7], v[12:13], s[6:7]
	v_add_co_u32_e32 v8, vcc, s4, v8
	v_and_b32_e32 v12, 0xffff, v14
	v_addc_co_u32_e32 v9, vcc, v9, v5, vcc
	v_lshl_or_b32 v12, v15, 16, v12
	global_store_dword v[8:9], v12, off
	v_and_or_b32 v6, v7, s17, v6
	v_cmp_ne_u32_e32 vcc, 0, v6
	v_cndmask_b32_e64 v6, 0, 1, vcc
	v_lshrrev_b32_e32 v12, 8, v7
	v_bfe_u32 v13, v7, 20, 11
	v_and_or_b32 v6, v12, s14, v6
	v_sub_u32_e32 v14, 0x3f1, v13
	v_or_b32_e32 v12, 0x1000, v6
	v_med3_i32 v14, v14, 0, 13
	v_lshrrev_b32_e32 v15, v14, v12
	v_lshlrev_b32_e32 v14, v14, v15
	v_mul_f16_sdwa v10, v60, v10 dst_sel:DWORD dst_unused:UNUSED_PAD src0_sel:WORD_1 src1_sel:DWORD
	v_cmp_ne_u32_e32 vcc, v14, v12
	v_fma_f16 v10, v60, v17, -v10
	v_cndmask_b32_e64 v12, 0, 1, vcc
	v_add_u32_e32 v14, 0xfffffc10, v13
	v_cvt_f32_f16_e32 v10, v10
	v_or_b32_e32 v12, v15, v12
	v_lshl_or_b32 v13, v14, 12, v6
	v_cmp_gt_i32_e32 vcc, 1, v14
	v_cndmask_b32_e32 v12, v13, v12, vcc
	v_and_b32_e32 v13, 7, v12
	v_cmp_lt_i32_e32 vcc, 5, v13
	v_cmp_eq_u32_e64 s[2:3], 3, v13
	v_lshrrev_b32_e32 v15, 2, v12
	v_cvt_f64_f32_e32 v[12:13], v10
	s_or_b64 vcc, s[2:3], vcc
	v_addc_co_u32_e32 v10, vcc, 0, v15, vcc
	v_mul_f64 v[12:13], v[12:13], s[6:7]
	v_cmp_gt_i32_e32 vcc, 31, v14
	v_cndmask_b32_e32 v10, v2, v10, vcc
	v_cmp_ne_u32_e32 vcc, 0, v6
	v_cndmask_b32_e64 v6, 0, 1, vcc
	v_lshl_or_b32 v6, v6, 9, v2
	v_cmp_eq_u32_e32 vcc, s15, v14
	v_cndmask_b32_e32 v6, v10, v6, vcc
	v_lshrrev_b32_e32 v7, 16, v7
	v_and_or_b32 v10, v7, s16, v6
	v_and_or_b32 v6, v13, s17, v12
	v_cmp_ne_u32_e32 vcc, 0, v6
	v_cndmask_b32_e64 v6, 0, 1, vcc
	v_lshrrev_b32_e32 v7, 8, v13
	v_and_or_b32 v12, v7, s14, v6
	v_bfe_u32 v7, v13, 20, 11
	v_sub_u32_e32 v14, 0x3f1, v7
	v_or_b32_e32 v6, 0x1000, v12
	v_med3_i32 v14, v14, 0, 13
	v_lshrrev_b32_e32 v15, v14, v6
	v_lshlrev_b32_e32 v14, v14, v15
	v_cmp_ne_u32_e32 vcc, v14, v6
	v_cndmask_b32_e64 v6, 0, 1, vcc
	v_add_u32_e32 v16, 0xfffffc10, v7
	v_or_b32_e32 v6, v15, v6
	v_lshl_or_b32 v7, v16, 12, v12
	v_cmp_gt_i32_e32 vcc, 1, v16
	v_cndmask_b32_e32 v6, v7, v6, vcc
	v_and_b32_e32 v7, 7, v6
	v_cmp_lt_i32_e32 vcc, 5, v7
	v_cmp_eq_u32_e64 s[2:3], 3, v7
	v_lshrrev_b32_e32 v14, 2, v6
	ds_read2_b32 v[6:7], v4 offset0:64 offset1:176
	s_or_b64 vcc, s[2:3], vcc
	v_addc_co_u32_e32 v4, vcc, 0, v14, vcc
	v_cmp_gt_i32_e32 vcc, 31, v16
	s_waitcnt lgkmcnt(0)
	v_lshrrev_b32_e32 v17, 16, v6
	v_mul_f16_sdwa v14, v59, v17 dst_sel:DWORD dst_unused:UNUSED_PAD src0_sel:WORD_1 src1_sel:DWORD
	v_fma_f16 v14, v59, v6, v14
	v_cvt_f32_f16_e32 v14, v14
	v_cndmask_b32_e32 v4, v2, v4, vcc
	v_cmp_ne_u32_e32 vcc, 0, v12
	v_cndmask_b32_e64 v12, 0, 1, vcc
	v_cvt_f64_f32_e32 v[14:15], v14
	v_lshl_or_b32 v12, v12, 9, v2
	v_cmp_eq_u32_e32 vcc, s15, v16
	v_cndmask_b32_e32 v4, v4, v12, vcc
	v_lshrrev_b32_e32 v12, 16, v13
	v_and_or_b32 v4, v12, s16, v4
	v_mul_f64 v[12:13], v[14:15], s[6:7]
	v_and_b32_e32 v10, 0xffff, v10
	v_add_co_u32_e32 v8, vcc, s10, v8
	v_lshl_or_b32 v4, v4, 16, v10
	v_addc_co_u32_e32 v9, vcc, v9, v1, vcc
	global_store_dword v[8:9], v4, off
	v_and_or_b32 v4, v13, s17, v12
	v_cmp_ne_u32_e32 vcc, 0, v4
	v_cndmask_b32_e64 v4, 0, 1, vcc
	v_lshrrev_b32_e32 v10, 8, v13
	v_bfe_u32 v12, v13, 20, 11
	v_and_or_b32 v4, v10, s14, v4
	v_sub_u32_e32 v14, 0x3f1, v12
	v_or_b32_e32 v10, 0x1000, v4
	v_med3_i32 v14, v14, 0, 13
	v_lshrrev_b32_e32 v15, v14, v10
	v_lshlrev_b32_e32 v14, v14, v15
	v_mul_f16_sdwa v6, v59, v6 dst_sel:DWORD dst_unused:UNUSED_PAD src0_sel:WORD_1 src1_sel:DWORD
	v_cmp_ne_u32_e32 vcc, v14, v10
	v_fma_f16 v6, v59, v17, -v6
	v_cndmask_b32_e64 v10, 0, 1, vcc
	v_add_u32_e32 v12, 0xfffffc10, v12
	v_cvt_f32_f16_e32 v6, v6
	v_or_b32_e32 v10, v15, v10
	v_lshl_or_b32 v14, v12, 12, v4
	v_cmp_gt_i32_e32 vcc, 1, v12
	v_cndmask_b32_e32 v10, v14, v10, vcc
	v_and_b32_e32 v14, 7, v10
	v_cmp_lt_i32_e32 vcc, 5, v14
	v_cmp_eq_u32_e64 s[2:3], 3, v14
	v_cvt_f64_f32_e32 v[14:15], v6
	v_lshrrev_b32_e32 v10, 2, v10
	s_or_b64 vcc, s[2:3], vcc
	v_addc_co_u32_e32 v6, vcc, 0, v10, vcc
	v_mul_f64 v[14:15], v[14:15], s[6:7]
	v_cmp_gt_i32_e32 vcc, 31, v12
	v_cndmask_b32_e32 v6, v2, v6, vcc
	v_cmp_ne_u32_e32 vcc, 0, v4
	v_cndmask_b32_e64 v4, 0, 1, vcc
	v_lshl_or_b32 v4, v4, 9, v2
	v_cmp_eq_u32_e32 vcc, s15, v12
	v_cndmask_b32_e32 v4, v6, v4, vcc
	v_lshrrev_b32_e32 v6, 16, v13
	v_and_or_b32 v4, v6, s16, v4
	v_and_or_b32 v6, v15, s17, v14
	v_cmp_ne_u32_e32 vcc, 0, v6
	v_cndmask_b32_e64 v6, 0, 1, vcc
	v_lshrrev_b32_e32 v10, 8, v15
	v_bfe_u32 v12, v15, 20, 11
	v_and_or_b32 v6, v10, s14, v6
	v_sub_u32_e32 v13, 0x3f1, v12
	v_or_b32_e32 v10, 0x1000, v6
	v_med3_i32 v13, v13, 0, 13
	v_lshrrev_b32_e32 v14, v13, v10
	v_lshlrev_b32_e32 v13, v13, v14
	v_cmp_ne_u32_e32 vcc, v13, v10
	v_cndmask_b32_e64 v10, 0, 1, vcc
	v_or_b32_e32 v10, v14, v10
	v_add_u32_e32 v14, 0xfffffc10, v12
	v_lshl_or_b32 v12, v14, 12, v6
	v_cmp_gt_i32_e32 vcc, 1, v14
	v_cndmask_b32_e32 v10, v12, v10, vcc
	v_and_b32_e32 v12, 7, v10
	v_lshrrev_b32_e32 v16, 16, v11
	v_cmp_lt_i32_e32 vcc, 5, v12
	v_cmp_eq_u32_e64 s[2:3], 3, v12
	v_mul_f16_sdwa v12, v58, v16 dst_sel:DWORD dst_unused:UNUSED_PAD src0_sel:WORD_1 src1_sel:DWORD
	v_fma_f16 v12, v58, v11, v12
	v_cvt_f32_f16_e32 v12, v12
	v_lshrrev_b32_e32 v10, 2, v10
	s_or_b64 vcc, s[2:3], vcc
	v_addc_co_u32_e32 v10, vcc, 0, v10, vcc
	v_cvt_f64_f32_e32 v[12:13], v12
	v_cmp_gt_i32_e32 vcc, 31, v14
	v_cndmask_b32_e32 v10, v2, v10, vcc
	v_cmp_ne_u32_e32 vcc, 0, v6
	v_mul_f64 v[12:13], v[12:13], s[6:7]
	v_cndmask_b32_e64 v6, 0, 1, vcc
	v_lshl_or_b32 v6, v6, 9, v2
	v_cmp_eq_u32_e32 vcc, s15, v14
	v_cndmask_b32_e32 v6, v10, v6, vcc
	v_lshrrev_b32_e32 v10, 16, v15
	v_and_or_b32 v6, v10, s16, v6
	v_and_b32_e32 v4, 0xffff, v4
	v_add_co_u32_e32 v8, vcc, s4, v8
	v_lshl_or_b32 v4, v6, 16, v4
	v_addc_co_u32_e32 v9, vcc, v9, v5, vcc
	global_store_dword v[8:9], v4, off
	v_and_or_b32 v4, v13, s17, v12
	v_cmp_ne_u32_e32 vcc, 0, v4
	v_cndmask_b32_e64 v4, 0, 1, vcc
	v_lshrrev_b32_e32 v6, 8, v13
	v_bfe_u32 v10, v13, 20, 11
	v_and_or_b32 v4, v6, s14, v4
	v_sub_u32_e32 v12, 0x3f1, v10
	v_or_b32_e32 v6, 0x1000, v4
	v_med3_i32 v12, v12, 0, 13
	v_lshrrev_b32_e32 v14, v12, v6
	v_lshlrev_b32_e32 v12, v12, v14
	v_mul_f16_sdwa v11, v58, v11 dst_sel:DWORD dst_unused:UNUSED_PAD src0_sel:WORD_1 src1_sel:DWORD
	v_cmp_ne_u32_e32 vcc, v12, v6
	v_fma_f16 v11, v58, v16, -v11
	v_cndmask_b32_e64 v6, 0, 1, vcc
	v_add_u32_e32 v12, 0xfffffc10, v10
	v_cvt_f32_f16_e32 v11, v11
	v_or_b32_e32 v6, v14, v6
	v_lshl_or_b32 v10, v12, 12, v4
	v_cmp_gt_i32_e32 vcc, 1, v12
	v_cndmask_b32_e32 v6, v10, v6, vcc
	v_and_b32_e32 v10, 7, v6
	v_cmp_lt_i32_e32 vcc, 5, v10
	v_cmp_eq_u32_e64 s[2:3], 3, v10
	v_cvt_f64_f32_e32 v[10:11], v11
	v_lshrrev_b32_e32 v6, 2, v6
	s_or_b64 vcc, s[2:3], vcc
	v_addc_co_u32_e32 v6, vcc, 0, v6, vcc
	v_mul_f64 v[10:11], v[10:11], s[6:7]
	v_cmp_gt_i32_e32 vcc, 31, v12
	v_cndmask_b32_e32 v6, v2, v6, vcc
	v_cmp_ne_u32_e32 vcc, 0, v4
	v_cndmask_b32_e64 v4, 0, 1, vcc
	v_lshl_or_b32 v4, v4, 9, v2
	v_cmp_eq_u32_e32 vcc, s15, v12
	v_cndmask_b32_e32 v4, v6, v4, vcc
	v_lshrrev_b32_e32 v6, 16, v13
	v_and_or_b32 v4, v6, s16, v4
	v_and_or_b32 v6, v11, s17, v10
	v_cmp_ne_u32_e32 vcc, 0, v6
	v_cndmask_b32_e64 v6, 0, 1, vcc
	v_lshrrev_b32_e32 v10, 8, v11
	v_bfe_u32 v12, v11, 20, 11
	v_and_or_b32 v6, v10, s14, v6
	v_sub_u32_e32 v13, 0x3f1, v12
	v_or_b32_e32 v10, 0x1000, v6
	v_med3_i32 v13, v13, 0, 13
	v_lshrrev_b32_e32 v14, v13, v10
	v_lshlrev_b32_e32 v13, v13, v14
	v_cmp_ne_u32_e32 vcc, v13, v10
	v_cndmask_b32_e64 v10, 0, 1, vcc
	v_or_b32_e32 v10, v14, v10
	v_add_u32_e32 v14, 0xfffffc10, v12
	v_lshl_or_b32 v12, v14, 12, v6
	v_cmp_gt_i32_e32 vcc, 1, v14
	v_cndmask_b32_e32 v10, v12, v10, vcc
	v_and_b32_e32 v12, 7, v10
	v_lshrrev_b32_e32 v15, 16, v7
	v_cmp_lt_i32_e32 vcc, 5, v12
	v_cmp_eq_u32_e64 s[2:3], 3, v12
	v_mul_f16_sdwa v12, v57, v15 dst_sel:DWORD dst_unused:UNUSED_PAD src0_sel:WORD_1 src1_sel:DWORD
	v_fma_f16 v12, v57, v7, v12
	v_cvt_f32_f16_e32 v12, v12
	v_lshrrev_b32_e32 v10, 2, v10
	s_or_b64 vcc, s[2:3], vcc
	v_addc_co_u32_e32 v10, vcc, 0, v10, vcc
	v_cmp_gt_i32_e32 vcc, 31, v14
	v_cndmask_b32_e32 v10, v2, v10, vcc
	v_cmp_ne_u32_e32 vcc, 0, v6
	v_cvt_f64_f32_e32 v[12:13], v12
	v_cndmask_b32_e64 v6, 0, 1, vcc
	v_lshl_or_b32 v6, v6, 9, v2
	v_cmp_eq_u32_e32 vcc, s15, v14
	v_cndmask_b32_e32 v6, v10, v6, vcc
	v_lshrrev_b32_e32 v10, 16, v11
	v_and_or_b32 v6, v10, s16, v6
	v_mul_f64 v[10:11], v[12:13], s[6:7]
	v_and_b32_e32 v4, 0xffff, v4
	v_add_co_u32_e32 v8, vcc, s10, v8
	v_lshl_or_b32 v4, v6, 16, v4
	v_addc_co_u32_e32 v9, vcc, v9, v1, vcc
	global_store_dword v[8:9], v4, off
	v_and_or_b32 v4, v11, s17, v10
	v_cmp_ne_u32_e32 vcc, 0, v4
	v_cndmask_b32_e64 v4, 0, 1, vcc
	v_lshrrev_b32_e32 v6, 8, v11
	v_bfe_u32 v10, v11, 20, 11
	v_and_or_b32 v4, v6, s14, v4
	v_sub_u32_e32 v12, 0x3f1, v10
	v_or_b32_e32 v6, 0x1000, v4
	v_med3_i32 v12, v12, 0, 13
	v_lshrrev_b32_e32 v13, v12, v6
	v_lshlrev_b32_e32 v12, v12, v13
	v_mul_f16_sdwa v7, v57, v7 dst_sel:DWORD dst_unused:UNUSED_PAD src0_sel:WORD_1 src1_sel:DWORD
	v_cmp_ne_u32_e32 vcc, v12, v6
	v_fma_f16 v7, v57, v15, -v7
	v_cndmask_b32_e64 v6, 0, 1, vcc
	v_add_u32_e32 v10, 0xfffffc10, v10
	v_cvt_f32_f16_e32 v7, v7
	v_or_b32_e32 v6, v13, v6
	v_lshl_or_b32 v12, v10, 12, v4
	v_cmp_gt_i32_e32 vcc, 1, v10
	v_cndmask_b32_e32 v6, v12, v6, vcc
	v_and_b32_e32 v12, 7, v6
	v_cmp_lt_i32_e32 vcc, 5, v12
	v_cmp_eq_u32_e64 s[2:3], 3, v12
	v_lshrrev_b32_e32 v12, 2, v6
	v_cvt_f64_f32_e32 v[6:7], v7
	s_or_b64 vcc, s[2:3], vcc
	v_addc_co_u32_e32 v12, vcc, 0, v12, vcc
	v_mul_f64 v[6:7], v[6:7], s[6:7]
	v_cmp_gt_i32_e32 vcc, 31, v10
	v_cndmask_b32_e32 v12, v2, v12, vcc
	v_cmp_ne_u32_e32 vcc, 0, v4
	v_cndmask_b32_e64 v4, 0, 1, vcc
	v_lshl_or_b32 v4, v4, 9, v2
	v_cmp_eq_u32_e32 vcc, s15, v10
	v_cndmask_b32_e32 v4, v12, v4, vcc
	v_lshrrev_b32_e32 v10, 16, v11
	v_and_or_b32 v12, v10, s16, v4
	v_and_or_b32 v4, v7, s17, v6
	v_cmp_ne_u32_e32 vcc, 0, v4
	v_cndmask_b32_e64 v4, 0, 1, vcc
	v_lshrrev_b32_e32 v6, 8, v7
	v_bfe_u32 v10, v7, 20, 11
	v_and_or_b32 v6, v6, s14, v4
	v_sub_u32_e32 v11, 0x3f1, v10
	v_or_b32_e32 v4, 0x1000, v6
	v_med3_i32 v11, v11, 0, 13
	v_lshrrev_b32_e32 v13, v11, v4
	v_lshlrev_b32_e32 v11, v11, v13
	v_cmp_ne_u32_e32 vcc, v11, v4
	v_cndmask_b32_e64 v4, 0, 1, vcc
	v_or_b32_e32 v4, v13, v4
	v_add_u32_e32 v13, 0xfffffc10, v10
	v_lshl_or_b32 v10, v13, 12, v6
	v_cmp_gt_i32_e32 vcc, 1, v13
	v_cndmask_b32_e32 v4, v10, v4, vcc
	v_and_b32_e32 v10, 7, v4
	v_cmp_lt_i32_e32 vcc, 5, v10
	v_cmp_eq_u32_e64 s[2:3], 3, v10
	v_lshrrev_b32_e32 v10, 2, v4
	ds_read2_b32 v[3:4], v3 offset0:120 offset1:232
	s_or_b64 vcc, s[2:3], vcc
	v_addc_co_u32_e32 v10, vcc, 0, v10, vcc
	v_cmp_gt_i32_e32 vcc, 31, v13
	s_waitcnt lgkmcnt(0)
	v_lshrrev_b32_e32 v15, 16, v3
	v_cndmask_b32_e32 v14, v2, v10, vcc
	v_mul_f16_sdwa v10, v56, v15 dst_sel:DWORD dst_unused:UNUSED_PAD src0_sel:WORD_1 src1_sel:DWORD
	v_fma_f16 v10, v56, v3, v10
	v_cvt_f32_f16_e32 v10, v10
	v_cmp_ne_u32_e32 vcc, 0, v6
	v_cndmask_b32_e64 v6, 0, 1, vcc
	v_lshl_or_b32 v6, v6, 9, v2
	v_cvt_f64_f32_e32 v[10:11], v10
	v_cmp_eq_u32_e32 vcc, s15, v13
	v_cndmask_b32_e32 v6, v14, v6, vcc
	v_lshrrev_b32_e32 v7, 16, v7
	v_and_or_b32 v13, v7, s16, v6
	v_mul_f64 v[6:7], v[10:11], s[6:7]
	v_add_co_u32_e32 v8, vcc, s4, v8
	v_and_b32_e32 v10, 0xffff, v12
	v_addc_co_u32_e32 v9, vcc, v9, v5, vcc
	v_lshl_or_b32 v10, v13, 16, v10
	global_store_dword v[8:9], v10, off
	v_and_or_b32 v6, v7, s17, v6
	v_cmp_ne_u32_e32 vcc, 0, v6
	v_cndmask_b32_e64 v6, 0, 1, vcc
	v_lshrrev_b32_e32 v10, 8, v7
	v_bfe_u32 v11, v7, 20, 11
	v_and_or_b32 v6, v10, s14, v6
	v_sub_u32_e32 v12, 0x3f1, v11
	v_or_b32_e32 v10, 0x1000, v6
	v_med3_i32 v12, v12, 0, 13
	v_lshrrev_b32_e32 v13, v12, v10
	v_lshlrev_b32_e32 v12, v12, v13
	v_mul_f16_sdwa v3, v56, v3 dst_sel:DWORD dst_unused:UNUSED_PAD src0_sel:WORD_1 src1_sel:DWORD
	v_cmp_ne_u32_e32 vcc, v12, v10
	v_fma_f16 v3, v56, v15, -v3
	v_cndmask_b32_e64 v10, 0, 1, vcc
	v_add_u32_e32 v12, 0xfffffc10, v11
	v_cvt_f32_f16_e32 v3, v3
	v_or_b32_e32 v10, v13, v10
	v_lshl_or_b32 v11, v12, 12, v6
	v_cmp_gt_i32_e32 vcc, 1, v12
	v_cndmask_b32_e32 v10, v11, v10, vcc
	v_and_b32_e32 v11, 7, v10
	v_cmp_lt_i32_e32 vcc, 5, v11
	v_cmp_eq_u32_e64 s[2:3], 3, v11
	v_lshrrev_b32_e32 v13, 2, v10
	v_cvt_f64_f32_e32 v[10:11], v3
	s_or_b64 vcc, s[2:3], vcc
	v_addc_co_u32_e32 v3, vcc, 0, v13, vcc
	v_mul_f64 v[10:11], v[10:11], s[6:7]
	v_cmp_gt_i32_e32 vcc, 31, v12
	v_cndmask_b32_e32 v3, v2, v3, vcc
	v_cmp_ne_u32_e32 vcc, 0, v6
	v_cndmask_b32_e64 v6, 0, 1, vcc
	v_lshl_or_b32 v6, v6, 9, v2
	v_cmp_eq_u32_e32 vcc, s15, v12
	v_cndmask_b32_e32 v3, v3, v6, vcc
	v_lshrrev_b32_e32 v6, 16, v7
	v_and_or_b32 v3, v6, s16, v3
	v_and_or_b32 v6, v11, s17, v10
	v_cmp_ne_u32_e32 vcc, 0, v6
	v_cndmask_b32_e64 v6, 0, 1, vcc
	v_lshrrev_b32_e32 v7, 8, v11
	v_bfe_u32 v10, v11, 20, 11
	v_and_or_b32 v6, v7, s14, v6
	v_sub_u32_e32 v12, 0x3f1, v10
	v_or_b32_e32 v7, 0x1000, v6
	v_med3_i32 v12, v12, 0, 13
	v_lshrrev_b32_e32 v13, v12, v7
	v_lshlrev_b32_e32 v12, v12, v13
	v_cmp_ne_u32_e32 vcc, v12, v7
	v_cndmask_b32_e64 v7, 0, 1, vcc
	v_add_u32_e32 v10, 0xfffffc10, v10
	v_or_b32_e32 v7, v13, v7
	v_lshl_or_b32 v12, v10, 12, v6
	v_cmp_gt_i32_e32 vcc, 1, v10
	v_cndmask_b32_e32 v7, v12, v7, vcc
	v_and_b32_e32 v12, 7, v7
	v_cmp_lt_i32_e32 vcc, 5, v12
	v_cmp_eq_u32_e64 s[2:3], 3, v12
	v_lshrrev_b32_e32 v7, 2, v7
	s_or_b64 vcc, s[2:3], vcc
	v_addc_co_u32_e32 v7, vcc, 0, v7, vcc
	v_cmp_gt_i32_e32 vcc, 31, v10
	v_lshrrev_b32_e32 v13, 16, v0
	v_cndmask_b32_e32 v12, v2, v7, vcc
	v_mul_f16_sdwa v7, v55, v13 dst_sel:DWORD dst_unused:UNUSED_PAD src0_sel:WORD_1 src1_sel:DWORD
	v_fma_f16 v7, v55, v0, v7
	v_cvt_f32_f16_e32 v7, v7
	v_cmp_ne_u32_e32 vcc, 0, v6
	v_cndmask_b32_e64 v6, 0, 1, vcc
	v_lshl_or_b32 v14, v6, 9, v2
	v_cvt_f64_f32_e32 v[6:7], v7
	v_cmp_eq_u32_e32 vcc, s15, v10
	v_cndmask_b32_e32 v10, v12, v14, vcc
	v_lshrrev_b32_e32 v11, 16, v11
	v_mul_f64 v[6:7], v[6:7], s[6:7]
	v_and_or_b32 v10, v11, s16, v10
	v_and_b32_e32 v3, 0xffff, v3
	v_add_co_u32_e32 v8, vcc, s10, v8
	v_lshl_or_b32 v3, v10, 16, v3
	v_addc_co_u32_e32 v9, vcc, v9, v1, vcc
	global_store_dword v[8:9], v3, off
	v_and_or_b32 v3, v7, s17, v6
	v_cmp_ne_u32_e32 vcc, 0, v3
	v_cndmask_b32_e64 v3, 0, 1, vcc
	v_lshrrev_b32_e32 v6, 8, v7
	v_bfe_u32 v10, v7, 20, 11
	v_and_or_b32 v3, v6, s14, v3
	v_sub_u32_e32 v11, 0x3f1, v10
	v_or_b32_e32 v6, 0x1000, v3
	v_med3_i32 v11, v11, 0, 13
	v_lshrrev_b32_e32 v12, v11, v6
	v_lshlrev_b32_e32 v11, v11, v12
	v_cmp_ne_u32_e32 vcc, v11, v6
	v_mul_f16_sdwa v0, v55, v0 dst_sel:DWORD dst_unused:UNUSED_PAD src0_sel:WORD_1 src1_sel:DWORD
	v_cndmask_b32_e64 v6, 0, 1, vcc
	v_fma_f16 v0, v55, v13, -v0
	v_or_b32_e32 v6, v12, v6
	v_add_u32_e32 v12, 0xfffffc10, v10
	v_cvt_f32_f16_e32 v0, v0
	v_lshl_or_b32 v10, v12, 12, v3
	v_cmp_gt_i32_e32 vcc, 1, v12
	v_cndmask_b32_e32 v6, v10, v6, vcc
	v_and_b32_e32 v10, 7, v6
	v_cmp_lt_i32_e32 vcc, 5, v10
	v_cmp_eq_u32_e64 s[2:3], 3, v10
	v_cvt_f64_f32_e32 v[10:11], v0
	v_lshrrev_b32_e32 v6, 2, v6
	s_or_b64 vcc, s[2:3], vcc
	v_addc_co_u32_e32 v0, vcc, 0, v6, vcc
	v_mul_f64 v[10:11], v[10:11], s[6:7]
	v_cmp_gt_i32_e32 vcc, 31, v12
	v_cndmask_b32_e32 v0, v2, v0, vcc
	v_cmp_ne_u32_e32 vcc, 0, v3
	v_cndmask_b32_e64 v3, 0, 1, vcc
	v_lshl_or_b32 v3, v3, 9, v2
	v_cmp_eq_u32_e32 vcc, s15, v12
	v_cndmask_b32_e32 v0, v0, v3, vcc
	v_lshrrev_b32_e32 v3, 16, v7
	v_and_or_b32 v0, v3, s16, v0
	v_and_or_b32 v3, v11, s17, v10
	v_cmp_ne_u32_e32 vcc, 0, v3
	v_cndmask_b32_e64 v3, 0, 1, vcc
	v_lshrrev_b32_e32 v6, 8, v11
	v_bfe_u32 v7, v11, 20, 11
	v_and_or_b32 v3, v6, s14, v3
	v_sub_u32_e32 v10, 0x3f1, v7
	v_or_b32_e32 v6, 0x1000, v3
	v_med3_i32 v10, v10, 0, 13
	v_lshrrev_b32_e32 v12, v10, v6
	v_lshlrev_b32_e32 v10, v10, v12
	v_cmp_ne_u32_e32 vcc, v10, v6
	v_cndmask_b32_e64 v6, 0, 1, vcc
	v_add_u32_e32 v10, 0xfffffc10, v7
	v_or_b32_e32 v6, v12, v6
	v_lshl_or_b32 v7, v10, 12, v3
	v_cmp_gt_i32_e32 vcc, 1, v10
	v_cndmask_b32_e32 v6, v7, v6, vcc
	v_and_b32_e32 v7, 7, v6
	v_cmp_lt_i32_e32 vcc, 5, v7
	v_cmp_eq_u32_e64 s[2:3], 3, v7
	v_lshrrev_b32_e32 v6, 2, v6
	s_or_b64 vcc, s[2:3], vcc
	v_addc_co_u32_e32 v6, vcc, 0, v6, vcc
	v_cmp_gt_i32_e32 vcc, 31, v10
	v_lshrrev_b32_e32 v13, 16, v4
	v_cndmask_b32_e32 v12, v2, v6, vcc
	v_mul_f16_sdwa v6, v54, v13 dst_sel:DWORD dst_unused:UNUSED_PAD src0_sel:WORD_1 src1_sel:DWORD
	v_fma_f16 v6, v54, v4, v6
	v_cvt_f32_f16_e32 v6, v6
	v_cmp_ne_u32_e32 vcc, 0, v3
	v_cndmask_b32_e64 v3, 0, 1, vcc
	v_lshl_or_b32 v3, v3, 9, v2
	v_cvt_f64_f32_e32 v[6:7], v6
	v_cmp_eq_u32_e32 vcc, s15, v10
	v_cndmask_b32_e32 v3, v12, v3, vcc
	v_lshrrev_b32_e32 v10, 16, v11
	v_mul_f64 v[6:7], v[6:7], s[6:7]
	v_and_or_b32 v3, v10, s16, v3
	v_and_b32_e32 v0, 0xffff, v0
	v_add_co_u32_e32 v8, vcc, s4, v8
	v_lshl_or_b32 v0, v3, 16, v0
	v_addc_co_u32_e32 v9, vcc, v9, v5, vcc
	global_store_dword v[8:9], v0, off
	v_and_or_b32 v0, v7, s17, v6
	v_cmp_ne_u32_e32 vcc, 0, v0
	v_cndmask_b32_e64 v0, 0, 1, vcc
	v_lshrrev_b32_e32 v3, 8, v7
	v_bfe_u32 v5, v7, 20, 11
	v_and_or_b32 v0, v3, s14, v0
	v_sub_u32_e32 v6, 0x3f1, v5
	v_or_b32_e32 v3, 0x1000, v0
	v_med3_i32 v6, v6, 0, 13
	v_lshrrev_b32_e32 v10, v6, v3
	v_lshlrev_b32_e32 v6, v6, v10
	v_mul_f16_sdwa v4, v54, v4 dst_sel:DWORD dst_unused:UNUSED_PAD src0_sel:WORD_1 src1_sel:DWORD
	v_cmp_ne_u32_e32 vcc, v6, v3
	v_fma_f16 v4, v54, v13, -v4
	v_cndmask_b32_e64 v3, 0, 1, vcc
	v_add_u32_e32 v5, 0xfffffc10, v5
	v_cvt_f32_f16_e32 v4, v4
	v_or_b32_e32 v3, v10, v3
	v_lshl_or_b32 v6, v5, 12, v0
	v_cmp_gt_i32_e32 vcc, 1, v5
	v_cndmask_b32_e32 v3, v6, v3, vcc
	v_and_b32_e32 v6, 7, v3
	v_cmp_lt_i32_e32 vcc, 5, v6
	v_cmp_eq_u32_e64 s[2:3], 3, v6
	v_lshrrev_b32_e32 v6, 2, v3
	v_cvt_f64_f32_e32 v[3:4], v4
	s_or_b64 vcc, s[2:3], vcc
	v_addc_co_u32_e32 v6, vcc, 0, v6, vcc
	v_mul_f64 v[3:4], v[3:4], s[6:7]
	v_cmp_gt_i32_e32 vcc, 31, v5
	v_cndmask_b32_e32 v6, v2, v6, vcc
	v_cmp_ne_u32_e32 vcc, 0, v0
	v_cndmask_b32_e64 v0, 0, 1, vcc
	v_lshl_or_b32 v0, v0, 9, v2
	v_cmp_eq_u32_e32 vcc, s15, v5
	v_cndmask_b32_e32 v0, v6, v0, vcc
	v_and_or_b32 v3, v4, s17, v3
	v_lshrrev_b32_e32 v5, 16, v7
	v_cmp_ne_u32_e32 vcc, 0, v3
	v_and_or_b32 v0, v5, s16, v0
	v_cndmask_b32_e64 v3, 0, 1, vcc
	v_lshrrev_b32_e32 v5, 8, v4
	v_bfe_u32 v6, v4, 20, 11
	v_and_or_b32 v3, v5, s14, v3
	v_sub_u32_e32 v7, 0x3f1, v6
	v_or_b32_e32 v5, 0x1000, v3
	v_med3_i32 v7, v7, 0, 13
	v_lshrrev_b32_e32 v10, v7, v5
	v_lshlrev_b32_e32 v7, v7, v10
	v_cmp_ne_u32_e32 vcc, v7, v5
	v_cndmask_b32_e64 v5, 0, 1, vcc
	v_add_u32_e32 v6, 0xfffffc10, v6
	v_or_b32_e32 v5, v10, v5
	v_lshl_or_b32 v7, v6, 12, v3
	v_cmp_gt_i32_e32 vcc, 1, v6
	v_cndmask_b32_e32 v5, v7, v5, vcc
	v_and_b32_e32 v7, 7, v5
	v_cmp_lt_i32_e32 vcc, 5, v7
	v_cmp_eq_u32_e64 s[2:3], 3, v7
	v_lshrrev_b32_e32 v5, 2, v5
	s_or_b64 vcc, s[2:3], vcc
	v_addc_co_u32_e32 v5, vcc, 0, v5, vcc
	v_cmp_gt_i32_e32 vcc, 31, v6
	v_cndmask_b32_e32 v5, v2, v5, vcc
	v_cmp_ne_u32_e32 vcc, 0, v3
	v_cndmask_b32_e64 v3, 0, 1, vcc
	v_lshl_or_b32 v3, v3, 9, v2
	v_cmp_eq_u32_e32 vcc, s15, v6
	v_cndmask_b32_e32 v3, v5, v3, vcc
	v_lshrrev_b32_e32 v4, 16, v4
	v_and_or_b32 v3, v4, s16, v3
	v_and_b32_e32 v0, 0xffff, v0
	v_lshl_or_b32 v3, v3, 16, v0
	v_add_co_u32_e32 v0, vcc, s10, v8
	v_addc_co_u32_e32 v1, vcc, v9, v1, vcc
	global_store_dword v[0:1], v3, off
	s_and_b64 exec, exec, s[0:1]
	s_cbranch_execz .LBB0_47
; %bb.46:
	global_load_dword v3, v[24:25], off offset:3136
	ds_read_b32 v4, v53 offset:3136
	ds_read_b32 v9, v53 offset:6496
	v_add_co_u32_e32 v7, vcc, s18, v24
	v_addc_co_u32_e32 v8, vcc, 0, v25, vcc
	s_waitcnt lgkmcnt(1)
	v_lshrrev_b32_e32 v5, 16, v4
	v_mov_b32_e32 v10, s5
	v_add_co_u32_e32 v0, vcc, s4, v0
	v_addc_co_u32_e32 v1, vcc, v1, v10, vcc
	s_waitcnt vmcnt(0)
	v_mul_f16_sdwa v6, v5, v3 dst_sel:DWORD dst_unused:UNUSED_PAD src0_sel:DWORD src1_sel:WORD_1
	v_fma_f16 v6, v4, v3, v6
	v_mul_f16_sdwa v4, v4, v3 dst_sel:DWORD dst_unused:UNUSED_PAD src0_sel:DWORD src1_sel:WORD_1
	v_cvt_f32_f16_e32 v6, v6
	v_fma_f16 v3, v3, v5, -v4
	v_cvt_f32_f16_e32 v5, v3
	v_cvt_f64_f32_e32 v[3:4], v6
	v_cvt_f64_f32_e32 v[5:6], v5
	v_mul_f64 v[3:4], v[3:4], s[6:7]
	v_mul_f64 v[5:6], v[5:6], s[6:7]
	v_and_or_b32 v3, v4, s17, v3
	v_cmp_ne_u32_e32 vcc, 0, v3
	v_and_or_b32 v5, v6, s17, v5
	v_lshrrev_b32_e32 v10, 8, v4
	v_bfe_u32 v11, v4, 20, 11
	v_cndmask_b32_e64 v3, 0, 1, vcc
	v_cmp_ne_u32_e32 vcc, 0, v5
	v_lshrrev_b32_e32 v12, 8, v6
	v_bfe_u32 v13, v6, 20, 11
	v_sub_u32_e32 v14, 0x3f1, v11
	v_cndmask_b32_e64 v5, 0, 1, vcc
	v_and_or_b32 v3, v10, s14, v3
	v_sub_u32_e32 v15, 0x3f1, v13
	v_med3_i32 v10, v14, 0, 13
	v_and_or_b32 v5, v12, s14, v5
	v_or_b32_e32 v14, 0x1000, v3
	v_add_u32_e32 v11, 0xfffffc10, v11
	v_med3_i32 v12, v15, 0, 13
	v_cmp_ne_u32_e32 vcc, 0, v3
	v_or_b32_e32 v16, 0x1000, v5
	v_lshrrev_b32_e32 v18, v10, v14
	v_add_u32_e32 v13, 0xfffffc10, v13
	v_lshl_or_b32 v15, v11, 12, v3
	v_cndmask_b32_e64 v3, 0, 1, vcc
	v_cmp_ne_u32_e32 vcc, 0, v5
	v_lshrrev_b32_e32 v19, v12, v16
	v_lshlrev_b32_e32 v10, v10, v18
	v_lshl_or_b32 v17, v13, 12, v5
	v_cndmask_b32_e64 v5, 0, 1, vcc
	v_lshlrev_b32_e32 v12, v12, v19
	v_cmp_ne_u32_e32 vcc, v10, v14
	v_cndmask_b32_e64 v10, 0, 1, vcc
	v_cmp_ne_u32_e32 vcc, v12, v16
	v_cndmask_b32_e64 v12, 0, 1, vcc
	v_or_b32_e32 v10, v18, v10
	v_cmp_gt_i32_e32 vcc, 1, v11
	v_cndmask_b32_e32 v10, v15, v10, vcc
	v_or_b32_e32 v12, v19, v12
	v_cmp_gt_i32_e32 vcc, 1, v13
	v_and_b32_e32 v14, 7, v10
	v_cndmask_b32_e32 v12, v17, v12, vcc
	v_cmp_lt_i32_e32 vcc, 5, v14
	v_cmp_eq_u32_e64 s[0:1], 3, v14
	v_lshrrev_b32_e32 v10, 2, v10
	v_and_b32_e32 v15, 7, v12
	s_or_b64 vcc, s[0:1], vcc
	v_cmp_lt_i32_e64 s[2:3], 5, v15
	v_cmp_eq_u32_e64 s[4:5], 3, v15
	v_addc_co_u32_e32 v10, vcc, 0, v10, vcc
	v_lshrrev_b32_e32 v12, 2, v12
	s_or_b64 vcc, s[4:5], s[2:3]
	v_addc_co_u32_e32 v12, vcc, 0, v12, vcc
	v_cmp_gt_i32_e32 vcc, 31, v11
	v_cndmask_b32_e32 v10, v2, v10, vcc
	v_cmp_gt_i32_e32 vcc, 31, v13
	v_lshl_or_b32 v3, v3, 9, v2
	v_cndmask_b32_e32 v12, v2, v12, vcc
	v_cmp_eq_u32_e32 vcc, s15, v11
	v_lshrrev_b32_e32 v4, 16, v4
	v_lshl_or_b32 v5, v5, 9, v2
	v_cndmask_b32_e32 v3, v10, v3, vcc
	v_cmp_eq_u32_e32 vcc, s15, v13
	v_lshrrev_b32_e32 v6, 16, v6
	v_cndmask_b32_e32 v5, v12, v5, vcc
	v_and_or_b32 v3, v4, s16, v3
	v_and_or_b32 v4, v6, s16, v5
	v_and_b32_e32 v3, 0xffff, v3
	v_lshl_or_b32 v3, v4, 16, v3
	global_store_dword v[0:1], v3, off
	global_load_dword v3, v[7:8], off offset:2400
	s_waitcnt lgkmcnt(0)
	v_lshrrev_b32_e32 v4, 16, v9
	v_mov_b32_e32 v7, s11
	s_waitcnt vmcnt(0)
	v_mul_f16_sdwa v5, v4, v3 dst_sel:DWORD dst_unused:UNUSED_PAD src0_sel:DWORD src1_sel:WORD_1
	v_fma_f16 v5, v9, v3, v5
	v_mul_f16_sdwa v6, v9, v3 dst_sel:DWORD dst_unused:UNUSED_PAD src0_sel:DWORD src1_sel:WORD_1
	v_cvt_f32_f16_e32 v5, v5
	v_fma_f16 v3, v3, v4, -v6
	v_cvt_f32_f16_e32 v6, v3
	v_cvt_f64_f32_e32 v[3:4], v5
	v_cvt_f64_f32_e32 v[5:6], v6
	v_mul_f64 v[3:4], v[3:4], s[6:7]
	v_mul_f64 v[5:6], v[5:6], s[6:7]
	v_and_or_b32 v3, v4, s17, v3
	v_cmp_ne_u32_e32 vcc, 0, v3
	v_and_or_b32 v5, v6, s17, v5
	v_lshrrev_b32_e32 v8, 8, v4
	v_bfe_u32 v9, v4, 20, 11
	v_cndmask_b32_e64 v3, 0, 1, vcc
	v_cmp_ne_u32_e32 vcc, 0, v5
	v_lshrrev_b32_e32 v10, 8, v6
	v_bfe_u32 v11, v6, 20, 11
	v_sub_u32_e32 v12, 0x3f1, v9
	v_cndmask_b32_e64 v5, 0, 1, vcc
	v_and_or_b32 v3, v8, s14, v3
	v_sub_u32_e32 v13, 0x3f1, v11
	v_med3_i32 v8, v12, 0, 13
	v_and_or_b32 v5, v10, s14, v5
	v_or_b32_e32 v12, 0x1000, v3
	v_add_u32_e32 v9, 0xfffffc10, v9
	v_med3_i32 v10, v13, 0, 13
	v_cmp_ne_u32_e32 vcc, 0, v3
	v_or_b32_e32 v14, 0x1000, v5
	v_lshrrev_b32_e32 v16, v8, v12
	v_add_u32_e32 v11, 0xfffffc10, v11
	v_lshl_or_b32 v13, v9, 12, v3
	v_cndmask_b32_e64 v3, 0, 1, vcc
	v_cmp_ne_u32_e32 vcc, 0, v5
	v_lshrrev_b32_e32 v17, v10, v14
	v_lshlrev_b32_e32 v8, v8, v16
	v_lshl_or_b32 v15, v11, 12, v5
	v_cndmask_b32_e64 v5, 0, 1, vcc
	v_lshlrev_b32_e32 v10, v10, v17
	v_cmp_ne_u32_e32 vcc, v8, v12
	v_cndmask_b32_e64 v8, 0, 1, vcc
	v_cmp_ne_u32_e32 vcc, v10, v14
	v_cndmask_b32_e64 v10, 0, 1, vcc
	v_or_b32_e32 v8, v16, v8
	v_cmp_gt_i32_e32 vcc, 1, v9
	v_cndmask_b32_e32 v8, v13, v8, vcc
	v_or_b32_e32 v10, v17, v10
	v_cmp_gt_i32_e32 vcc, 1, v11
	v_and_b32_e32 v12, 7, v8
	v_cndmask_b32_e32 v10, v15, v10, vcc
	v_cmp_lt_i32_e32 vcc, 5, v12
	v_cmp_eq_u32_e64 s[0:1], 3, v12
	v_lshrrev_b32_e32 v8, 2, v8
	v_and_b32_e32 v13, 7, v10
	s_or_b64 vcc, s[0:1], vcc
	v_cmp_lt_i32_e64 s[2:3], 5, v13
	v_cmp_eq_u32_e64 s[4:5], 3, v13
	v_addc_co_u32_e32 v8, vcc, 0, v8, vcc
	v_lshrrev_b32_e32 v10, 2, v10
	s_or_b64 vcc, s[4:5], s[2:3]
	v_addc_co_u32_e32 v10, vcc, 0, v10, vcc
	v_cmp_gt_i32_e32 vcc, 31, v9
	v_cndmask_b32_e32 v8, v2, v8, vcc
	v_cmp_gt_i32_e32 vcc, 31, v11
	v_lshl_or_b32 v3, v3, 9, v2
	v_lshl_or_b32 v5, v5, 9, v2
	v_cndmask_b32_e32 v2, v2, v10, vcc
	v_cmp_eq_u32_e32 vcc, s15, v9
	v_lshrrev_b32_e32 v4, 16, v4
	v_cndmask_b32_e32 v3, v8, v3, vcc
	v_cmp_eq_u32_e32 vcc, s15, v11
	v_lshrrev_b32_e32 v6, 16, v6
	v_cndmask_b32_e32 v2, v2, v5, vcc
	v_and_or_b32 v3, v4, s16, v3
	v_and_or_b32 v2, v6, s16, v2
	v_and_b32_e32 v3, 0xffff, v3
	v_add_co_u32_e32 v0, vcc, s10, v0
	v_lshl_or_b32 v2, v2, 16, v3
	v_addc_co_u32_e32 v1, vcc, v1, v7, vcc
	global_store_dword v[0:1], v2, off
.LBB0_47:
	s_endpgm
	.section	.rodata,"a",@progbits
	.p2align	6, 0x0
	.amdhsa_kernel bluestein_single_back_len1680_dim1_half_op_CI_CI
		.amdhsa_group_segment_fixed_size 6720
		.amdhsa_private_segment_fixed_size 0
		.amdhsa_kernarg_size 104
		.amdhsa_user_sgpr_count 6
		.amdhsa_user_sgpr_private_segment_buffer 1
		.amdhsa_user_sgpr_dispatch_ptr 0
		.amdhsa_user_sgpr_queue_ptr 0
		.amdhsa_user_sgpr_kernarg_segment_ptr 1
		.amdhsa_user_sgpr_dispatch_id 0
		.amdhsa_user_sgpr_flat_scratch_init 0
		.amdhsa_user_sgpr_private_segment_size 0
		.amdhsa_uses_dynamic_stack 0
		.amdhsa_system_sgpr_private_segment_wavefront_offset 0
		.amdhsa_system_sgpr_workgroup_id_x 1
		.amdhsa_system_sgpr_workgroup_id_y 0
		.amdhsa_system_sgpr_workgroup_id_z 0
		.amdhsa_system_sgpr_workgroup_info 0
		.amdhsa_system_vgpr_workitem_id 0
		.amdhsa_next_free_vgpr 165
		.amdhsa_next_free_sgpr 23
		.amdhsa_reserve_vcc 1
		.amdhsa_reserve_flat_scratch 0
		.amdhsa_float_round_mode_32 0
		.amdhsa_float_round_mode_16_64 0
		.amdhsa_float_denorm_mode_32 3
		.amdhsa_float_denorm_mode_16_64 3
		.amdhsa_dx10_clamp 1
		.amdhsa_ieee_mode 1
		.amdhsa_fp16_overflow 0
		.amdhsa_exception_fp_ieee_invalid_op 0
		.amdhsa_exception_fp_denorm_src 0
		.amdhsa_exception_fp_ieee_div_zero 0
		.amdhsa_exception_fp_ieee_overflow 0
		.amdhsa_exception_fp_ieee_underflow 0
		.amdhsa_exception_fp_ieee_inexact 0
		.amdhsa_exception_int_div_zero 0
	.end_amdhsa_kernel
	.text
.Lfunc_end0:
	.size	bluestein_single_back_len1680_dim1_half_op_CI_CI, .Lfunc_end0-bluestein_single_back_len1680_dim1_half_op_CI_CI
                                        ; -- End function
	.section	.AMDGPU.csdata,"",@progbits
; Kernel info:
; codeLenInByte = 28736
; NumSgprs: 27
; NumVgprs: 165
; ScratchSize: 0
; MemoryBound: 0
; FloatMode: 240
; IeeeMode: 1
; LDSByteSize: 6720 bytes/workgroup (compile time only)
; SGPRBlocks: 3
; VGPRBlocks: 41
; NumSGPRsForWavesPerEU: 27
; NumVGPRsForWavesPerEU: 165
; Occupancy: 1
; WaveLimiterHint : 1
; COMPUTE_PGM_RSRC2:SCRATCH_EN: 0
; COMPUTE_PGM_RSRC2:USER_SGPR: 6
; COMPUTE_PGM_RSRC2:TRAP_HANDLER: 0
; COMPUTE_PGM_RSRC2:TGID_X_EN: 1
; COMPUTE_PGM_RSRC2:TGID_Y_EN: 0
; COMPUTE_PGM_RSRC2:TGID_Z_EN: 0
; COMPUTE_PGM_RSRC2:TIDIG_COMP_CNT: 0
	.type	__hip_cuid_3e8ffbae28f24e81,@object ; @__hip_cuid_3e8ffbae28f24e81
	.section	.bss,"aw",@nobits
	.globl	__hip_cuid_3e8ffbae28f24e81
__hip_cuid_3e8ffbae28f24e81:
	.byte	0                               ; 0x0
	.size	__hip_cuid_3e8ffbae28f24e81, 1

	.ident	"AMD clang version 19.0.0git (https://github.com/RadeonOpenCompute/llvm-project roc-6.4.0 25133 c7fe45cf4b819c5991fe208aaa96edf142730f1d)"
	.section	".note.GNU-stack","",@progbits
	.addrsig
	.addrsig_sym __hip_cuid_3e8ffbae28f24e81
	.amdgpu_metadata
---
amdhsa.kernels:
  - .args:
      - .actual_access:  read_only
        .address_space:  global
        .offset:         0
        .size:           8
        .value_kind:     global_buffer
      - .actual_access:  read_only
        .address_space:  global
        .offset:         8
        .size:           8
        .value_kind:     global_buffer
      - .actual_access:  read_only
        .address_space:  global
        .offset:         16
        .size:           8
        .value_kind:     global_buffer
      - .actual_access:  read_only
        .address_space:  global
        .offset:         24
        .size:           8
        .value_kind:     global_buffer
      - .actual_access:  read_only
        .address_space:  global
        .offset:         32
        .size:           8
        .value_kind:     global_buffer
      - .offset:         40
        .size:           8
        .value_kind:     by_value
      - .address_space:  global
        .offset:         48
        .size:           8
        .value_kind:     global_buffer
      - .address_space:  global
        .offset:         56
        .size:           8
        .value_kind:     global_buffer
      - .address_space:  global
        .offset:         64
        .size:           8
        .value_kind:     global_buffer
      - .address_space:  global
        .offset:         72
        .size:           8
        .value_kind:     global_buffer
      - .offset:         80
        .size:           4
        .value_kind:     by_value
      - .address_space:  global
        .offset:         88
        .size:           8
        .value_kind:     global_buffer
      - .address_space:  global
        .offset:         96
        .size:           8
        .value_kind:     global_buffer
    .group_segment_fixed_size: 6720
    .kernarg_segment_align: 8
    .kernarg_segment_size: 104
    .language:       OpenCL C
    .language_version:
      - 2
      - 0
    .max_flat_workgroup_size: 112
    .name:           bluestein_single_back_len1680_dim1_half_op_CI_CI
    .private_segment_fixed_size: 0
    .sgpr_count:     27
    .sgpr_spill_count: 0
    .symbol:         bluestein_single_back_len1680_dim1_half_op_CI_CI.kd
    .uniform_work_group_size: 1
    .uses_dynamic_stack: false
    .vgpr_count:     165
    .vgpr_spill_count: 0
    .wavefront_size: 64
amdhsa.target:   amdgcn-amd-amdhsa--gfx906
amdhsa.version:
  - 1
  - 2
...

	.end_amdgpu_metadata
